;; amdgpu-corpus repo=ROCm/rocFFT kind=compiled arch=gfx906 opt=O3
	.text
	.amdgcn_target "amdgcn-amd-amdhsa--gfx906"
	.amdhsa_code_object_version 6
	.protected	bluestein_single_fwd_len714_dim1_dp_op_CI_CI ; -- Begin function bluestein_single_fwd_len714_dim1_dp_op_CI_CI
	.globl	bluestein_single_fwd_len714_dim1_dp_op_CI_CI
	.p2align	8
	.type	bluestein_single_fwd_len714_dim1_dp_op_CI_CI,@function
bluestein_single_fwd_len714_dim1_dp_op_CI_CI: ; @bluestein_single_fwd_len714_dim1_dp_op_CI_CI
; %bb.0:
	s_load_dwordx4 s[8:11], s[4:5], 0x28
	s_mov_b64 s[70:71], s[2:3]
	v_mul_u32_u24_e32 v1, 0x506, v0
	s_mov_b64 s[68:69], s[0:1]
	v_add_u32_sdwa v4, s6, v1 dst_sel:DWORD dst_unused:UNUSED_PAD src0_sel:DWORD src1_sel:WORD_1
	v_mov_b32_e32 v5, 0
	s_add_u32 s68, s68, s7
	s_waitcnt lgkmcnt(0)
	v_cmp_gt_u64_e32 vcc, s[8:9], v[4:5]
	s_addc_u32 s69, s69, 0
	s_and_saveexec_b64 s[0:1], vcc
	s_cbranch_execz .LBB0_23
; %bb.1:
	s_load_dwordx4 s[12:15], s[4:5], 0x18
	s_load_dwordx2 s[16:17], s[4:5], 0x0
	v_mov_b32_e32 v2, 51
	v_mul_lo_u16_sdwa v1, v1, v2 dst_sel:DWORD dst_unused:UNUSED_PAD src0_sel:WORD_1 src1_sel:DWORD
	v_sub_u16_e32 v240, v0, v1
	s_waitcnt lgkmcnt(0)
	s_load_dwordx4 s[0:3], s[12:13], 0x0
	v_mov_b32_e32 v5, v4
	buffer_store_dword v5, off, s[68:71], 0 offset:32 ; 4-byte Folded Spill
	s_nop 0
	buffer_store_dword v6, off, s[68:71], 0 offset:36 ; 4-byte Folded Spill
	v_lshlrev_b32_e32 v255, 4, v240
	s_waitcnt lgkmcnt(0)
	v_mad_u64_u32 v[0:1], s[6:7], s2, v4, 0
	v_mad_u64_u32 v[2:3], s[6:7], s0, v240, 0
	s_mul_i32 s6, s1, 0xee
	s_mul_hi_u32 s7, s0, 0xee
	v_mad_u64_u32 v[4:5], s[2:3], s3, v4, v[1:2]
	s_add_i32 s7, s7, s6
	s_mul_i32 s6, s0, 0xee
	v_mad_u64_u32 v[5:6], s[2:3], s1, v240, v[3:4]
	v_mov_b32_e32 v1, v4
	v_lshlrev_b64 v[0:1], 4, v[0:1]
	v_mov_b32_e32 v6, s11
	v_mov_b32_e32 v3, v5
	v_add_co_u32_e32 v4, vcc, s10, v0
	v_addc_co_u32_e32 v5, vcc, v6, v1, vcc
	v_lshlrev_b64 v[0:1], 4, v[2:3]
	v_mov_b32_e32 v2, s17
	v_add_co_u32_e32 v0, vcc, v4, v0
	v_add_co_u32_e64 v238, s[2:3], s16, v255
	v_addc_co_u32_e32 v1, vcc, v5, v1, vcc
	v_addc_co_u32_e64 v239, vcc, 0, v2, s[2:3]
	s_lshl_b64 s[12:13], s[6:7], 4
	v_mov_b32_e32 v50, s13
	v_add_co_u32_e32 v2, vcc, s12, v0
	v_addc_co_u32_e32 v3, vcc, v1, v50, vcc
	global_load_dwordx4 v[6:9], v[0:1], off
	global_load_dwordx4 v[10:13], v[2:3], off
	global_load_dwordx4 v[70:73], v255, s[16:17] offset:3808
	v_add_co_u32_e32 v2, vcc, s12, v2
	v_addc_co_u32_e32 v3, vcc, v3, v50, vcc
	s_movk_i32 s6, 0x1000
	v_add_co_u32_e32 v0, vcc, s6, v238
	s_mul_hi_u32 s6, s0, 0xfffffe57
	s_mulk_i32 s1, 0xfe57
	s_sub_i32 s6, s6, s0
	s_add_i32 s1, s6, s1
	s_mulk_i32 s0, 0xfe57
	v_addc_co_u32_e32 v1, vcc, 0, v239, vcc
	s_lshl_b64 s[0:1], s[0:1], 4
	global_load_dwordx4 v[14:17], v[2:3], off
	global_load_dwordx4 v[78:81], v[0:1], off offset:3520
	v_mov_b32_e32 v42, s1
	v_add_co_u32_e32 v2, vcc, s0, v2
	global_load_dwordx4 v[106:109], v255, s[16:17]
	global_load_dwordx4 v[98:101], v255, s[16:17] offset:816
	v_addc_co_u32_e32 v3, vcc, v3, v42, vcc
	v_add_co_u32_e32 v4, vcc, s12, v2
	v_addc_co_u32_e32 v5, vcc, v3, v50, vcc
	global_load_dwordx4 v[18:21], v[2:3], off
	global_load_dwordx4 v[22:25], v[4:5], off
	v_add_co_u32_e32 v4, vcc, s12, v4
	v_addc_co_u32_e32 v5, vcc, v5, v50, vcc
	s_movk_i32 s6, 0x2000
	v_add_co_u32_e32 v2, vcc, s6, v238
	v_addc_co_u32_e32 v3, vcc, 0, v239, vcc
	global_load_dwordx4 v[26:29], v[4:5], off
	v_add_co_u32_e32 v4, vcc, s0, v4
	v_addc_co_u32_e32 v5, vcc, v5, v42, vcc
	global_load_dwordx4 v[30:33], v[4:5], off
	global_load_dwordx4 v[86:89], v255, s[16:17] offset:1632
	v_add_co_u32_e32 v4, vcc, s12, v4
	v_addc_co_u32_e32 v5, vcc, v5, v50, vcc
	global_load_dwordx4 v[34:37], v[4:5], off
	global_load_dwordx4 v[114:117], v[0:1], off offset:528
	global_load_dwordx4 v[82:85], v[0:1], off offset:1344
	v_add_co_u32_e32 v4, vcc, s12, v4
	v_addc_co_u32_e32 v5, vcc, v5, v50, vcc
	global_load_dwordx4 v[110:113], v[2:3], off offset:240
	global_load_dwordx4 v[38:41], v[4:5], off
	global_load_dwordx4 v[74:77], v[2:3], off offset:1056
	v_add_co_u32_e32 v4, vcc, s0, v4
	v_addc_co_u32_e32 v5, vcc, v5, v42, vcc
	global_load_dwordx4 v[42:45], v[4:5], off
	global_load_dwordx4 v[90:93], v255, s[16:17] offset:2448
	v_add_co_u32_e32 v4, vcc, s12, v4
	v_addc_co_u32_e32 v5, vcc, v5, v50, vcc
	global_load_dwordx4 v[46:49], v[4:5], off
	global_load_dwordx4 v[94:97], v[0:1], off offset:2160
	v_add_co_u32_e32 v4, vcc, s12, v4
	v_addc_co_u32_e32 v5, vcc, v5, v50, vcc
	global_load_dwordx4 v[50:53], v[4:5], off
	global_load_dwordx4 v[102:105], v[2:3], off offset:1872
	v_cmp_gt_u16_e32 vcc, 34, v240
	s_waitcnt vmcnt(21)
	v_mul_f64 v[58:59], v[12:13], v[72:73]
	v_mul_f64 v[60:61], v[10:11], v[72:73]
	v_fma_f64 v[10:11], v[10:11], v[70:71], v[58:59]
	s_waitcnt vmcnt(19)
	v_mul_f64 v[62:63], v[16:17], v[80:81]
	v_mul_f64 v[64:65], v[14:15], v[80:81]
	s_waitcnt vmcnt(18)
	v_mul_f64 v[54:55], v[8:9], v[108:109]
	v_mul_f64 v[56:57], v[6:7], v[108:109]
	v_fma_f64 v[14:15], v[14:15], v[78:79], v[62:63]
	s_waitcnt vmcnt(16)
	v_mul_f64 v[66:67], v[20:21], v[100:101]
	v_fma_f64 v[6:7], v[6:7], v[106:107], v[54:55]
	buffer_store_dword v106, off, s[68:71], 0 offset:184 ; 4-byte Folded Spill
	s_nop 0
	buffer_store_dword v107, off, s[68:71], 0 offset:188 ; 4-byte Folded Spill
	buffer_store_dword v108, off, s[68:71], 0 offset:192 ; 4-byte Folded Spill
	buffer_store_dword v109, off, s[68:71], 0 offset:196 ; 4-byte Folded Spill
	buffer_store_dword v70, off, s[68:71], 0 offset:40 ; 4-byte Folded Spill
	s_nop 0
	buffer_store_dword v71, off, s[68:71], 0 offset:44 ; 4-byte Folded Spill
	buffer_store_dword v72, off, s[68:71], 0 offset:48 ; 4-byte Folded Spill
	buffer_store_dword v73, off, s[68:71], 0 offset:52 ; 4-byte Folded Spill
	;; [unrolled: 5-line block ×3, first 2 shown]
	v_mul_f64 v[68:69], v[18:19], v[100:101]
	v_fma_f64 v[18:19], v[18:19], v[98:99], v[66:67]
	buffer_store_dword v98, off, s[68:71], 0 offset:152 ; 4-byte Folded Spill
	s_nop 0
	buffer_store_dword v99, off, s[68:71], 0 offset:156 ; 4-byte Folded Spill
	buffer_store_dword v100, off, s[68:71], 0 offset:160 ; 4-byte Folded Spill
	;; [unrolled: 1-line block ×3, first 2 shown]
	s_load_dwordx2 s[6:7], s[4:5], 0x38
	s_load_dwordx4 s[8:11], s[14:15], 0x0
	v_fma_f64 v[8:9], v[8:9], v[106:107], -v[56:57]
	v_fma_f64 v[12:13], v[12:13], v[70:71], -v[60:61]
	;; [unrolled: 1-line block ×4, first 2 shown]
	ds_write_b128 v255, v[6:9]
	ds_write_b128 v255, v[10:13] offset:3808
	ds_write_b128 v255, v[14:17] offset:7616
	;; [unrolled: 1-line block ×3, first 2 shown]
	s_waitcnt vmcnt(26)
	v_mul_f64 v[6:7], v[24:25], v[116:117]
	s_waitcnt vmcnt(24)
	v_mul_f64 v[10:11], v[28:29], v[112:113]
	v_mul_f64 v[14:15], v[32:33], v[88:89]
	;; [unrolled: 1-line block ×7, first 2 shown]
	v_fma_f64 v[6:7], v[22:23], v[114:115], v[6:7]
	buffer_store_dword v114, off, s[68:71], 0 offset:216 ; 4-byte Folded Spill
	s_nop 0
	buffer_store_dword v115, off, s[68:71], 0 offset:220 ; 4-byte Folded Spill
	buffer_store_dword v116, off, s[68:71], 0 offset:224 ; 4-byte Folded Spill
	buffer_store_dword v117, off, s[68:71], 0 offset:228 ; 4-byte Folded Spill
	v_fma_f64 v[10:11], v[26:27], v[110:111], v[10:11]
	buffer_store_dword v110, off, s[68:71], 0 offset:200 ; 4-byte Folded Spill
	s_nop 0
	buffer_store_dword v111, off, s[68:71], 0 offset:204 ; 4-byte Folded Spill
	buffer_store_dword v112, off, s[68:71], 0 offset:208 ; 4-byte Folded Spill
	buffer_store_dword v113, off, s[68:71], 0 offset:212 ; 4-byte Folded Spill
	;; [unrolled: 6-line block ×4, first 2 shown]
	s_waitcnt vmcnt(38)
	v_mul_f64 v[22:23], v[40:41], v[76:77]
	s_waitcnt vmcnt(36)
	v_mul_f64 v[26:27], v[44:45], v[92:93]
	;; [unrolled: 2-line block ×4, first 2 shown]
	v_fma_f64 v[22:23], v[38:39], v[74:75], v[22:23]
	v_fma_f64 v[26:27], v[42:43], v[90:91], v[26:27]
	;; [unrolled: 1-line block ×4, first 2 shown]
	v_fma_f64 v[8:9], v[24:25], v[114:115], -v[8:9]
	v_mul_f64 v[24:25], v[38:39], v[76:77]
	buffer_store_dword v74, off, s[68:71], 0 offset:56 ; 4-byte Folded Spill
	s_nop 0
	buffer_store_dword v75, off, s[68:71], 0 offset:60 ; 4-byte Folded Spill
	buffer_store_dword v76, off, s[68:71], 0 offset:64 ; 4-byte Folded Spill
	buffer_store_dword v77, off, s[68:71], 0 offset:68 ; 4-byte Folded Spill
	v_fma_f64 v[12:13], v[28:29], v[110:111], -v[12:13]
	v_mul_f64 v[28:29], v[42:43], v[92:93]
	buffer_store_dword v90, off, s[68:71], 0 offset:120 ; 4-byte Folded Spill
	s_nop 0
	buffer_store_dword v91, off, s[68:71], 0 offset:124 ; 4-byte Folded Spill
	buffer_store_dword v92, off, s[68:71], 0 offset:128 ; 4-byte Folded Spill
	buffer_store_dword v93, off, s[68:71], 0 offset:132 ; 4-byte Folded Spill
	;; [unrolled: 7-line block ×4, first 2 shown]
	v_fma_f64 v[24:25], v[40:41], v[74:75], -v[24:25]
	v_fma_f64 v[28:29], v[44:45], v[90:91], -v[28:29]
	;; [unrolled: 1-line block ×4, first 2 shown]
	ds_write_b128 v255, v[6:9] offset:4624
	ds_write_b128 v255, v[10:13] offset:8432
	;; [unrolled: 1-line block ×8, first 2 shown]
	s_and_saveexec_b64 s[14:15], vcc
	s_cbranch_execz .LBB0_3
; %bb.2:
	v_mov_b32_e32 v6, s1
	v_add_co_u32_e64 v8, s[0:1], s0, v4
	v_addc_co_u32_e64 v9, s[0:1], v5, v6, s[0:1]
	v_mov_b32_e32 v22, s13
	v_add_co_u32_e64 v20, s[0:1], s12, v8
	global_load_dwordx4 v[4:7], v[8:9], off
	v_addc_co_u32_e64 v21, s[0:1], v9, v22, s[0:1]
	global_load_dwordx4 v[8:11], v[20:21], off
	global_load_dwordx4 v[12:15], v[238:239], off offset:3264
	global_load_dwordx4 v[16:19], v[0:1], off offset:2976
	v_add_co_u32_e64 v0, s[0:1], s12, v20
	v_addc_co_u32_e64 v1, s[0:1], v21, v22, s[0:1]
	global_load_dwordx4 v[20:23], v[2:3], off offset:2688
	global_load_dwordx4 v[24:27], v[0:1], off
	s_waitcnt vmcnt(3)
	v_mul_f64 v[0:1], v[6:7], v[14:15]
	v_mul_f64 v[2:3], v[4:5], v[14:15]
	s_waitcnt vmcnt(2)
	v_mul_f64 v[14:15], v[10:11], v[18:19]
	v_mul_f64 v[18:19], v[8:9], v[18:19]
	;; [unrolled: 3-line block ×3, first 2 shown]
	v_fma_f64 v[0:1], v[4:5], v[12:13], v[0:1]
	v_fma_f64 v[2:3], v[6:7], v[12:13], -v[2:3]
	v_fma_f64 v[4:5], v[8:9], v[16:17], v[14:15]
	v_fma_f64 v[6:7], v[10:11], v[16:17], -v[18:19]
	;; [unrolled: 2-line block ×3, first 2 shown]
	ds_write_b128 v255, v[0:3] offset:3264
	ds_write_b128 v255, v[4:7] offset:7072
	;; [unrolled: 1-line block ×3, first 2 shown]
.LBB0_3:
	s_or_b64 exec, exec, s[14:15]
	s_waitcnt lgkmcnt(0)
	; wave barrier
	s_waitcnt lgkmcnt(0)
	ds_read_b128 v[96:99], v255
	ds_read_b128 v[84:87], v255 offset:816
	ds_read_b128 v[100:103], v255 offset:3808
	;; [unrolled: 1-line block ×11, first 2 shown]
                                        ; implicit-def: $vgpr48_vgpr49
                                        ; implicit-def: $vgpr52_vgpr53
                                        ; implicit-def: $vgpr56_vgpr57
	s_and_saveexec_b64 s[0:1], vcc
	s_cbranch_execz .LBB0_5
; %bb.4:
	ds_read_b128 v[48:51], v255 offset:3264
	ds_read_b128 v[52:55], v255 offset:7072
	;; [unrolled: 1-line block ×3, first 2 shown]
.LBB0_5:
	s_or_b64 exec, exec, s[0:1]
	s_waitcnt lgkmcnt(9)
	v_add_f64 v[0:1], v[96:97], v[100:101]
	s_waitcnt lgkmcnt(7)
	v_add_f64 v[2:3], v[102:103], -v[106:107]
	s_movk_i32 s0, 0xcc
	v_add_co_u32_e64 v7, s[0:1], s0, v240
	s_mov_b32 s0, 0xe8584caa
	s_mov_b32 s1, 0x3febb67a
	;; [unrolled: 1-line block ×3, first 2 shown]
	v_add_f64 v[112:113], v[0:1], v[104:105]
	v_add_f64 v[0:1], v[100:101], v[104:105]
	s_mov_b32 s12, s0
	s_load_dwordx2 s[4:5], s[4:5], 0x8
	v_add_u32_e32 v4, 51, v240
	v_add_u32_e32 v5, 0x66, v240
	;; [unrolled: 1-line block ×3, first 2 shown]
	s_waitcnt lgkmcnt(0)
	; wave barrier
	s_waitcnt lgkmcnt(0)
	v_fma_f64 v[0:1], v[0:1], -0.5, v[96:97]
	v_fma_f64 v[116:117], v[2:3], s[0:1], v[0:1]
	v_fma_f64 v[120:121], v[2:3], s[12:13], v[0:1]
	v_add_f64 v[0:1], v[98:99], v[102:103]
	v_add_f64 v[2:3], v[100:101], -v[104:105]
	v_add_f64 v[114:115], v[0:1], v[106:107]
	v_add_f64 v[0:1], v[102:103], v[106:107]
	v_fma_f64 v[0:1], v[0:1], -0.5, v[98:99]
	v_fma_f64 v[118:119], v[2:3], s[12:13], v[0:1]
	v_fma_f64 v[122:123], v[2:3], s[0:1], v[0:1]
	v_add_f64 v[0:1], v[84:85], v[88:89]
	v_add_f64 v[2:3], v[90:91], -v[94:95]
	v_add_f64 v[128:129], v[0:1], v[92:93]
	v_add_f64 v[0:1], v[88:89], v[92:93]
	v_fma_f64 v[0:1], v[0:1], -0.5, v[84:85]
	v_fma_f64 v[132:133], v[2:3], s[0:1], v[0:1]
	v_fma_f64 v[136:137], v[2:3], s[12:13], v[0:1]
	v_add_f64 v[0:1], v[86:87], v[90:91]
	v_add_f64 v[2:3], v[88:89], -v[92:93]
	v_mul_u32_u24_e32 v89, 3, v7
	v_add_f64 v[130:131], v[0:1], v[94:95]
	v_add_f64 v[0:1], v[90:91], v[94:95]
	v_fma_f64 v[0:1], v[0:1], -0.5, v[86:87]
	v_fma_f64 v[134:135], v[2:3], s[12:13], v[0:1]
	v_fma_f64 v[138:139], v[2:3], s[0:1], v[0:1]
	v_add_f64 v[0:1], v[72:73], v[76:77]
	v_add_f64 v[2:3], v[78:79], -v[82:83]
	v_add_f64 v[140:141], v[0:1], v[80:81]
	v_add_f64 v[0:1], v[76:77], v[80:81]
	v_fma_f64 v[0:1], v[0:1], -0.5, v[72:73]
	v_fma_f64 v[148:149], v[2:3], s[0:1], v[0:1]
	v_fma_f64 v[152:153], v[2:3], s[12:13], v[0:1]
	v_add_f64 v[0:1], v[74:75], v[78:79]
	v_add_f64 v[2:3], v[76:77], -v[80:81]
	;; [unrolled: 7-line block ×6, first 2 shown]
	v_add_f64 v[162:163], v[0:1], v[58:59]
	v_add_f64 v[0:1], v[54:55], v[58:59]
	v_fma_f64 v[0:1], v[0:1], -0.5, v[50:51]
	v_fma_f64 v[166:167], v[2:3], s[12:13], v[0:1]
	v_fma_f64 v[170:171], v[2:3], s[0:1], v[0:1]
	v_mul_lo_u16_e32 v0, 3, v240
	v_lshlrev_b32_e32 v98, 4, v0
	v_mul_u32_u24_e32 v0, 3, v4
	v_lshlrev_b32_e32 v99, 4, v0
	v_mul_u32_u24_e32 v0, 3, v5
	v_lshlrev_b32_e32 v71, 4, v0
	v_mul_u32_u24_e32 v0, 3, v6
	v_lshlrev_b32_e32 v84, 4, v0
	ds_write_b128 v98, v[112:115]
	ds_write_b128 v98, v[116:119] offset:16
	ds_write_b128 v98, v[120:123] offset:32
	ds_write_b128 v99, v[128:131]
	ds_write_b128 v99, v[132:135] offset:16
	ds_write_b128 v99, v[136:139] offset:32
	;; [unrolled: 3-line block ×4, first 2 shown]
	s_and_saveexec_b64 s[0:1], vcc
	s_cbranch_execz .LBB0_7
; %bb.6:
	v_lshlrev_b32_e32 v0, 4, v89
	ds_write_b128 v0, v[160:163]
	ds_write_b128 v0, v[164:167] offset:16
	ds_write_b128 v0, v[168:171] offset:32
.LBB0_7:
	s_or_b64 exec, exec, s[0:1]
	v_cmp_gt_u16_e64 s[0:1], 42, v240
	s_waitcnt lgkmcnt(0)
	; wave barrier
	s_waitcnt lgkmcnt(0)
                                        ; implicit-def: $vgpr172_vgpr173
                                        ; implicit-def: $vgpr176_vgpr177
	s_and_saveexec_b64 s[12:13], s[0:1]
	s_cbranch_execz .LBB0_9
; %bb.8:
	ds_read_b128 v[112:115], v255
	ds_read_b128 v[116:119], v255 offset:672
	ds_read_b128 v[120:123], v255 offset:1344
	;; [unrolled: 1-line block ×16, first 2 shown]
.LBB0_9:
	s_or_b64 exec, exec, s[12:13]
	s_movk_i32 s12, 0xab
	v_mul_lo_u16_sdwa v0, v240, s12 dst_sel:DWORD dst_unused:UNUSED_PAD src0_sel:BYTE_0 src1_sel:DWORD
	v_lshrrev_b16_e32 v0, 9, v0
	buffer_store_dword v0, off, s[68:71], 0 offset:232 ; 4-byte Folded Spill
	v_mul_lo_u16_e32 v0, 3, v0
	v_sub_u16_e32 v0, v240, v0
	v_and_b32_e32 v0, 0xff, v0
	buffer_store_dword v0, off, s[68:71], 0 offset:236 ; 4-byte Folded Spill
	v_lshlrev_b32_e32 v0, 8, v0
	global_load_dwordx4 v[58:61], v0, s[4:5]
	global_load_dwordx4 v[94:97], v0, s[4:5] offset:16
	global_load_dwordx4 v[62:65], v0, s[4:5] offset:32
	;; [unrolled: 1-line block ×15, first 2 shown]
	s_mov_b32 s26, 0x5d8e7cdc
	s_mov_b32 s27, 0xbfd71e95
	;; [unrolled: 1-line block ×44, first 2 shown]
	s_waitcnt vmcnt(15) lgkmcnt(14)
	v_mul_f64 v[0:1], v[118:119], v[60:61]
	v_mul_f64 v[2:3], v[116:117], v[60:61]
	s_waitcnt vmcnt(13) lgkmcnt(13)
	v_mul_f64 v[8:9], v[130:131], v[64:65]
	s_waitcnt vmcnt(12) lgkmcnt(12)
	;; [unrolled: 2-line block ×3, first 2 shown]
	v_mul_f64 v[16:17], v[138:139], v[184:185]
	v_mul_f64 v[10:11], v[128:129], v[64:65]
	;; [unrolled: 1-line block ×4, first 2 shown]
	v_fma_f64 v[249:250], v[116:117], v[58:59], -v[0:1]
	buffer_store_dword v58, off, s[68:71], 0 offset:240 ; 4-byte Folded Spill
	s_nop 0
	buffer_store_dword v59, off, s[68:71], 0 offset:244 ; 4-byte Folded Spill
	buffer_store_dword v60, off, s[68:71], 0 offset:248 ; 4-byte Folded Spill
	buffer_store_dword v61, off, s[68:71], 0 offset:252 ; 4-byte Folded Spill
	v_fma_f64 v[228:229], v[128:129], v[62:63], -v[8:9]
	buffer_store_dword v62, off, s[68:71], 0 offset:256 ; 4-byte Folded Spill
	s_nop 0
	buffer_store_dword v63, off, s[68:71], 0 offset:260 ; 4-byte Folded Spill
	buffer_store_dword v64, off, s[68:71], 0 offset:264 ; 4-byte Folded Spill
	buffer_store_dword v65, off, s[68:71], 0 offset:268 ; 4-byte Folded Spill
	v_fma_f64 v[224:225], v[132:133], v[66:67], -v[12:13]
	buffer_store_dword v66, off, s[68:71], 0 offset:272 ; 4-byte Folded Spill
	s_nop 0
	buffer_store_dword v67, off, s[68:71], 0 offset:276 ; 4-byte Folded Spill
	buffer_store_dword v68, off, s[68:71], 0 offset:280 ; 4-byte Folded Spill
	buffer_store_dword v69, off, s[68:71], 0 offset:284 ; 4-byte Folded Spill
	v_fma_f64 v[220:221], v[136:137], v[182:183], -v[16:17]
	buffer_store_dword v182, off, s[68:71], 0 offset:288 ; 4-byte Folded Spill
	s_nop 0
	buffer_store_dword v183, off, s[68:71], 0 offset:292 ; 4-byte Folded Spill
	buffer_store_dword v184, off, s[68:71], 0 offset:296 ; 4-byte Folded Spill
	buffer_store_dword v185, off, s[68:71], 0 offset:300 ; 4-byte Folded Spill
	s_waitcnt vmcnt(26) lgkmcnt(10)
	v_mul_f64 v[20:21], v[142:143], v[188:189]
	s_waitcnt vmcnt(25) lgkmcnt(9)
	v_mul_f64 v[24:25], v[150:151], v[206:207]
	;; [unrolled: 2-line block ×3, first 2 shown]
	v_mul_f64 v[22:23], v[140:141], v[188:189]
	v_mul_f64 v[26:27], v[148:149], v[206:207]
	;; [unrolled: 1-line block ×5, first 2 shown]
	v_fma_f64 v[196:197], v[140:141], v[186:187], -v[20:21]
	buffer_store_dword v186, off, s[68:71], 0 offset:304 ; 4-byte Folded Spill
	s_nop 0
	buffer_store_dword v187, off, s[68:71], 0 offset:308 ; 4-byte Folded Spill
	buffer_store_dword v188, off, s[68:71], 0 offset:312 ; 4-byte Folded Spill
	;; [unrolled: 1-line block ×3, first 2 shown]
	v_fma_f64 v[192:193], v[148:149], v[204:205], -v[24:25]
	buffer_store_dword v204, off, s[68:71], 0 offset:320 ; 4-byte Folded Spill
	s_nop 0
	buffer_store_dword v205, off, s[68:71], 0 offset:324 ; 4-byte Folded Spill
	buffer_store_dword v206, off, s[68:71], 0 offset:328 ; 4-byte Folded Spill
	;; [unrolled: 1-line block ×3, first 2 shown]
	s_waitcnt vmcnt(24) lgkmcnt(0)
	v_mul_f64 v[180:181], v[178:179], v[106:107]
	v_mul_f64 v[202:203], v[176:177], v[106:107]
	v_fma_f64 v[214:215], v[146:147], v[85:86], v[40:41]
	v_mul_f64 v[4:5], v[122:123], v[96:97]
	v_mul_f64 v[6:7], v[120:121], v[96:97]
	;; [unrolled: 1-line block ×6, first 2 shown]
	v_fma_f64 v[60:61], v[178:179], v[104:105], v[202:203]
	v_mul_f64 v[52:53], v[170:171], v[78:79]
	v_mul_f64 v[54:55], v[168:169], v[78:79]
	v_fma_f64 v[236:237], v[120:121], v[94:95], -v[4:5]
	v_fma_f64 v[243:244], v[122:123], v[94:95], v[6:7]
	v_mul_f64 v[28:29], v[154:155], v[110:111]
	v_fma_f64 v[174:175], v[174:175], v[100:101], v[200:201]
	v_mul_f64 v[30:31], v[152:153], v[110:111]
	v_mul_f64 v[42:43], v[158:159], v[82:83]
	;; [unrolled: 1-line block ×5, first 2 shown]
	v_fma_f64 v[188:189], v[152:153], v[108:109], -v[28:29]
	v_add_f64 v[122:123], v[243:244], -v[174:175]
	v_fma_f64 v[190:191], v[154:155], v[108:109], v[30:31]
	v_add_f64 v[30:31], v[243:244], v[174:175]
	v_fma_f64 v[158:159], v[158:159], v[80:81], v[44:45]
	v_fma_f64 v[216:217], v[156:157], v[80:81], -v[42:43]
	v_fma_f64 v[200:201], v[124:125], v[72:73], -v[32:33]
	v_mul_f64 v[68:69], v[122:123], s[22:23]
	v_mul_f64 v[230:231], v[122:123], s[38:39]
	v_add_f64 v[124:125], v[188:189], -v[200:201]
	v_fma_f64 v[251:252], v[118:119], v[58:59], v[2:3]
	v_fma_f64 v[58:59], v[176:177], v[104:105], -v[180:181]
	v_fma_f64 v[180:181], v[164:165], v[90:91], -v[48:49]
	v_fma_f64 v[164:165], v[172:173], v[100:101], -v[56:57]
	v_fma_f64 v[234:235], v[130:131], v[62:63], v[10:11]
	v_fma_f64 v[226:227], v[134:135], v[66:67], v[14:15]
	;; [unrolled: 1-line block ×3, first 2 shown]
	v_fma_f64 v[182:183], v[160:161], v[208:209], -v[36:37]
	buffer_store_dword v208, off, s[68:71], 0 offset:336 ; 4-byte Folded Spill
	s_nop 0
	buffer_store_dword v209, off, s[68:71], 0 offset:340 ; 4-byte Folded Spill
	buffer_store_dword v210, off, s[68:71], 0 offset:344 ; 4-byte Folded Spill
	;; [unrolled: 1-line block ×4, first 2 shown]
	s_nop 0
	buffer_store_dword v86, off, s[68:71], 0 offset:460 ; 4-byte Folded Spill
	buffer_store_dword v87, off, s[68:71], 0 offset:464 ; 4-byte Folded Spill
	;; [unrolled: 1-line block ×3, first 2 shown]
	v_add_f64 v[120:121], v[251:252], -v[60:61]
	v_add_f64 v[116:117], v[249:250], -v[58:59]
	v_fma_f64 v[172:173], v[166:167], v[90:91], v[50:51]
	v_fma_f64 v[166:167], v[168:169], v[76:77], -v[52:53]
	v_fma_f64 v[168:169], v[170:171], v[76:77], v[54:55]
	v_add_f64 v[218:219], v[249:250], v[58:59]
	v_add_f64 v[36:37], v[251:252], v[60:61]
	v_add_f64 v[118:119], v[236:237], -v[164:165]
	v_mul_f64 v[66:67], v[120:121], s[26:27]
	v_mul_f64 v[140:141], v[116:117], s[26:27]
	v_add_f64 v[28:29], v[236:237], v[164:165]
	v_add_f64 v[245:246], v[228:229], -v[166:167]
	v_add_f64 v[253:254], v[234:235], -v[168:169]
	v_fma_f64 v[194:195], v[150:151], v[204:205], v[26:27]
	v_add_f64 v[24:25], v[228:229], v[166:167]
	v_mul_f64 v[138:139], v[118:119], s[22:23]
	v_fma_f64 v[0:1], v[218:219], s[12:13], v[66:67]
	v_fma_f64 v[2:3], v[36:37], s[12:13], -v[140:141]
	v_add_f64 v[26:27], v[234:235], v[168:169]
	v_add_f64 v[170:171], v[226:227], -v[172:173]
	v_add_f64 v[247:248], v[224:225], -v[180:181]
	v_mul_f64 v[62:63], v[253:254], s[30:31]
	v_mul_f64 v[134:135], v[245:246], s[30:31]
	v_fma_f64 v[4:5], v[28:29], s[14:15], v[68:69]
	v_fma_f64 v[6:7], v[30:31], s[14:15], -v[138:139]
	v_add_f64 v[8:9], v[112:113], v[0:1]
	v_add_f64 v[10:11], v[114:115], v[2:3]
	;; [unrolled: 1-line block ×4, first 2 shown]
	v_mul_f64 v[64:65], v[170:171], s[38:39]
	v_mul_f64 v[136:137], v[247:248], s[38:39]
	v_fma_f64 v[12:13], v[24:25], s[18:19], v[62:63]
	v_fma_f64 v[14:15], v[26:27], s[18:19], -v[134:135]
	v_add_f64 v[4:5], v[4:5], v[8:9]
	v_add_f64 v[8:9], v[6:7], v[10:11]
	v_add_f64 v[10:11], v[220:221], -v[182:183]
	v_fma_f64 v[198:199], v[142:143], v[186:187], v[22:23]
	v_fma_f64 v[16:17], v[0:1], s[20:21], v[64:65]
	v_fma_f64 v[18:19], v[2:3], s[20:21], -v[136:137]
	v_add_f64 v[202:203], v[220:221], v[182:183]
	v_fma_f64 v[186:187], v[126:127], v[72:73], v[34:35]
	v_add_f64 v[4:5], v[12:13], v[4:5]
	v_add_f64 v[8:9], v[14:15], v[8:9]
	v_mul_f64 v[146:147], v[10:11], s[46:47]
	v_add_f64 v[12:13], v[198:199], -v[158:159]
	v_add_f64 v[14:15], v[196:197], -v[216:217]
	v_add_f64 v[212:213], v[194:195], v[214:215]
	v_mul_f64 v[176:177], v[124:125], s[52:53]
	v_add_f64 v[32:33], v[190:191], -v[186:187]
	v_add_f64 v[16:17], v[16:17], v[4:5]
	v_add_f64 v[18:19], v[18:19], v[8:9]
	;; [unrolled: 1-line block ×3, first 2 shown]
	v_mul_f64 v[148:149], v[12:13], s[50:51]
	v_add_f64 v[8:9], v[198:199], v[158:159]
	v_mul_f64 v[150:151], v[14:15], s[50:51]
	v_mul_f64 v[178:179], v[120:121], s[22:23]
	;; [unrolled: 1-line block ×8, first 2 shown]
	v_fma_f64 v[34:35], v[8:9], s[36:37], -v[150:151]
	v_fma_f64 v[42:43], v[218:219], s[14:15], v[178:179]
	v_fma_f64 v[184:185], v[162:163], v[208:209], v[46:47]
	v_fma_f64 v[241:242], v[144:145], v[85:86], -v[38:39]
	v_mul_f64 v[208:209], v[245:246], s[50:51]
	v_mul_f64 v[46:47], v[116:117], s[30:31]
	v_add_f64 v[6:7], v[222:223], -v[184:185]
	v_add_f64 v[204:205], v[222:223], v[184:185]
	v_add_f64 v[126:127], v[192:193], -v[241:242]
	v_add_f64 v[210:211], v[192:193], v[241:242]
	v_mul_f64 v[142:143], v[6:7], s[46:47]
	v_fma_f64 v[22:23], v[204:205], s[28:29], -v[146:147]
	v_mul_f64 v[152:153], v[126:127], s[48:49]
	v_fma_f64 v[20:21], v[202:203], s[28:29], v[142:143]
	v_fma_f64 v[40:41], v[212:213], s[34:35], -v[152:153]
	v_add_f64 v[16:17], v[20:21], v[16:17]
	v_add_f64 v[20:21], v[22:23], v[18:19]
	v_add_f64 v[18:19], v[194:195], -v[214:215]
	v_fma_f64 v[22:23], v[4:5], s[36:37], v[148:149]
	v_add_f64 v[34:35], v[34:35], v[20:21]
	v_mul_f64 v[144:145], v[18:19], s[48:49]
	v_add_f64 v[16:17], v[22:23], v[16:17]
	v_add_f64 v[20:21], v[188:189], v[200:201]
	;; [unrolled: 1-line block ×4, first 2 shown]
	v_fma_f64 v[38:39], v[210:211], s[34:35], v[144:145]
	v_fma_f64 v[40:41], v[22:23], s[40:41], -v[176:177]
	v_add_f64 v[16:17], v[38:39], v[16:17]
	v_fma_f64 v[38:39], v[20:21], s[40:41], v[154:155]
	v_add_f64 v[40:41], v[40:41], v[34:35]
	v_fma_f64 v[34:35], v[28:29], s[20:21], v[230:231]
	v_add_f64 v[38:39], v[38:39], v[16:17]
	buffer_store_dword v38, off, s[68:71], 0 ; 4-byte Folded Spill
	s_nop 0
	buffer_store_dword v39, off, s[68:71], 0 offset:4 ; 4-byte Folded Spill
	buffer_store_dword v40, off, s[68:71], 0 offset:8 ; 4-byte Folded Spill
	buffer_store_dword v41, off, s[68:71], 0 offset:12 ; 4-byte Folded Spill
	v_mul_f64 v[40:41], v[118:119], s[38:39]
	buffer_store_dword v40, off, s[68:71], 0 offset:448 ; 4-byte Folded Spill
	s_nop 0
	buffer_store_dword v41, off, s[68:71], 0 offset:452 ; 4-byte Folded Spill
	v_add_f64 v[16:17], v[112:113], v[42:43]
	v_fma_f64 v[38:39], v[36:37], s[14:15], -v[206:207]
	v_add_f64 v[16:17], v[34:35], v[16:17]
	v_add_f64 v[34:35], v[114:115], v[38:39]
	v_fma_f64 v[38:39], v[30:31], s[20:21], -v[40:41]
	v_mul_f64 v[40:41], v[253:254], s[50:51]
	buffer_store_dword v40, off, s[68:71], 0 offset:384 ; 4-byte Folded Spill
	s_nop 0
	buffer_store_dword v41, off, s[68:71], 0 offset:388 ; 4-byte Folded Spill
	v_add_f64 v[34:35], v[38:39], v[34:35]
	v_fma_f64 v[38:39], v[24:25], s[36:37], v[40:41]
	v_add_f64 v[16:17], v[38:39], v[16:17]
	v_fma_f64 v[38:39], v[26:27], s[36:37], -v[208:209]
	v_add_f64 v[34:35], v[38:39], v[34:35]
	v_mul_f64 v[38:39], v[170:171], s[52:53]
	buffer_store_dword v38, off, s[68:71], 0 offset:376 ; 4-byte Folded Spill
	s_nop 0
	buffer_store_dword v39, off, s[68:71], 0 offset:380 ; 4-byte Folded Spill
	v_fma_f64 v[38:39], v[0:1], s[40:41], v[38:39]
	v_add_f64 v[38:39], v[38:39], v[16:17]
	v_mul_f64 v[16:17], v[247:248], s[52:53]
	v_fma_f64 v[40:41], v[2:3], s[40:41], -v[16:17]
	v_add_f64 v[34:35], v[40:41], v[34:35]
	v_mul_f64 v[40:41], v[6:7], s[54:55]
	buffer_store_dword v40, off, s[68:71], 0 offset:368 ; 4-byte Folded Spill
	s_nop 0
	buffer_store_dword v41, off, s[68:71], 0 offset:372 ; 4-byte Folded Spill
	v_fma_f64 v[40:41], v[202:203], s[34:35], v[40:41]
	v_add_f64 v[38:39], v[40:41], v[38:39]
	v_mul_f64 v[40:41], v[10:11], s[54:55]
	buffer_store_dword v40, off, s[68:71], 0 offset:416 ; 4-byte Folded Spill
	s_nop 0
	buffer_store_dword v41, off, s[68:71], 0 offset:420 ; 4-byte Folded Spill
	v_fma_f64 v[40:41], v[204:205], s[34:35], -v[40:41]
	v_add_f64 v[34:35], v[40:41], v[34:35]
	v_fma_f64 v[40:41], v[4:5], s[28:29], v[232:233]
	v_add_f64 v[38:39], v[40:41], v[38:39]
	v_mul_f64 v[40:41], v[14:15], s[42:43]
	buffer_store_dword v40, off, s[68:71], 0 offset:408 ; 4-byte Folded Spill
	s_nop 0
	buffer_store_dword v41, off, s[68:71], 0 offset:412 ; 4-byte Folded Spill
	v_fma_f64 v[40:41], v[8:9], s[28:29], -v[40:41]
	v_add_f64 v[34:35], v[40:41], v[34:35]
	v_mul_f64 v[40:41], v[18:19], s[60:61]
	buffer_store_dword v40, off, s[68:71], 0 offset:352 ; 4-byte Folded Spill
	s_nop 0
	buffer_store_dword v41, off, s[68:71], 0 offset:356 ; 4-byte Folded Spill
	v_fma_f64 v[40:41], v[210:211], s[18:19], v[40:41]
	v_add_f64 v[38:39], v[40:41], v[38:39]
	v_mul_f64 v[40:41], v[126:127], s[60:61]
	buffer_store_dword v40, off, s[68:71], 0 offset:392 ; 4-byte Folded Spill
	s_nop 0
	buffer_store_dword v41, off, s[68:71], 0 offset:396 ; 4-byte Folded Spill
	v_fma_f64 v[40:41], v[212:213], s[18:19], -v[40:41]
	v_add_f64 v[34:35], v[40:41], v[34:35]
	v_mul_f64 v[40:41], v[32:33], s[56:57]
	buffer_store_dword v40, off, s[68:71], 0 offset:360 ; 4-byte Folded Spill
	s_nop 0
	buffer_store_dword v41, off, s[68:71], 0 offset:364 ; 4-byte Folded Spill
	v_fma_f64 v[40:41], v[20:21], s[12:13], v[40:41]
	v_add_f64 v[40:41], v[40:41], v[38:39]
	v_mul_f64 v[38:39], v[124:125], s[56:57]
	buffer_store_dword v38, off, s[68:71], 0 offset:400 ; 4-byte Folded Spill
	s_nop 0
	buffer_store_dword v39, off, s[68:71], 0 offset:404 ; 4-byte Folded Spill
	v_fma_f64 v[38:39], v[22:23], s[12:13], -v[38:39]
	v_add_f64 v[42:43], v[38:39], v[34:35]
	buffer_store_dword v40, off, s[68:71], 0 offset:16 ; 4-byte Folded Spill
	s_nop 0
	buffer_store_dword v41, off, s[68:71], 0 offset:20 ; 4-byte Folded Spill
	buffer_store_dword v42, off, s[68:71], 0 offset:24 ; 4-byte Folded Spill
	buffer_store_dword v43, off, s[68:71], 0 offset:28 ; 4-byte Folded Spill
	v_fma_f64 v[34:35], v[218:219], s[18:19], v[156:157]
	v_mul_f64 v[40:41], v[122:123], s[50:51]
	v_fma_f64 v[42:43], v[30:31], s[36:37], -v[48:49]
	v_add_f64 v[34:35], v[112:113], v[34:35]
	v_fma_f64 v[38:39], v[28:29], s[36:37], v[40:41]
	v_add_f64 v[34:35], v[38:39], v[34:35]
	v_fma_f64 v[38:39], v[36:37], s[18:19], -v[46:47]
	v_add_f64 v[38:39], v[114:115], v[38:39]
	v_add_f64 v[38:39], v[42:43], v[38:39]
	v_mul_f64 v[42:43], v[253:254], s[58:59]
	v_fma_f64 v[44:45], v[24:25], s[40:41], v[42:43]
	v_add_f64 v[34:35], v[44:45], v[34:35]
	v_fma_f64 v[44:45], v[26:27], s[40:41], -v[52:53]
	v_add_f64 v[44:45], v[44:45], v[38:39]
	v_mul_f64 v[38:39], v[170:171], s[42:43]
	v_fma_f64 v[50:51], v[0:1], s[28:29], v[38:39]
	v_add_f64 v[54:55], v[50:51], v[34:35]
	v_mul_f64 v[50:51], v[247:248], s[42:43]
	v_fma_f64 v[34:35], v[2:3], s[28:29], -v[50:51]
	v_add_f64 v[44:45], v[34:35], v[44:45]
	v_mul_f64 v[34:35], v[6:7], s[44:45]
	v_fma_f64 v[56:57], v[202:203], s[14:15], v[34:35]
	v_add_f64 v[56:57], v[56:57], v[54:55]
	v_mul_f64 v[54:55], v[10:11], s[44:45]
	v_fma_f64 v[128:129], v[204:205], s[14:15], -v[54:55]
	v_add_f64 v[128:129], v[128:129], v[44:45]
	v_mul_f64 v[44:45], v[12:13], s[26:27]
	buffer_store_dword v44, off, s[68:71], 0 offset:432 ; 4-byte Folded Spill
	s_nop 0
	buffer_store_dword v45, off, s[68:71], 0 offset:436 ; 4-byte Folded Spill
	v_fma_f64 v[44:45], v[4:5], s[12:13], v[44:45]
	v_add_f64 v[56:57], v[44:45], v[56:57]
	v_mul_f64 v[44:45], v[14:15], s[26:27]
	v_fma_f64 v[130:131], v[8:9], s[12:13], -v[44:45]
	v_add_f64 v[128:129], v[130:131], v[128:129]
	v_mul_f64 v[130:131], v[18:19], s[38:39]
	buffer_store_dword v130, off, s[68:71], 0 offset:424 ; 4-byte Folded Spill
	s_nop 0
	buffer_store_dword v131, off, s[68:71], 0 offset:428 ; 4-byte Folded Spill
	;; [unrolled: 9-line block ×3, first 2 shown]
	s_waitcnt lgkmcnt(0)
	; wave barrier
	s_waitcnt vmcnt(63) expcnt(7) lgkmcnt(15)
	v_fma_f64 v[132:133], v[20:21], s[34:35], v[132:133]
	v_add_f64 v[160:161], v[132:133], v[130:131]
	v_mul_f64 v[132:133], v[124:125], s[48:49]
	v_fma_f64 v[130:131], v[22:23], s[34:35], -v[132:133]
	v_add_f64 v[162:163], v[130:131], v[128:129]
	s_and_saveexec_b64 s[24:25], s[0:1]
	s_cbranch_execz .LBB0_11
; %bb.10:
	v_mul_f64 v[128:129], v[36:37], s[40:41]
	buffer_store_dword v132, off, s[68:71], 0 offset:572 ; 4-byte Folded Spill
	s_nop 0
	buffer_store_dword v133, off, s[68:71], 0 offset:576 ; 4-byte Folded Spill
	v_mul_f64 v[130:131], v[30:31], s[12:13]
	buffer_store_dword v134, off, s[68:71], 0 offset:516 ; 4-byte Folded Spill
	s_nop 0
	buffer_store_dword v135, off, s[68:71], 0 offset:520 ; 4-byte Folded Spill
	buffer_store_dword v144, off, s[68:71], 0 offset:484 ; 4-byte Folded Spill
	s_nop 0
	buffer_store_dword v145, off, s[68:71], 0 offset:488 ; 4-byte Folded Spill
	v_mul_f64 v[144:145], v[120:121], s[52:53]
	buffer_store_dword v146, off, s[68:71], 0 offset:564 ; 4-byte Folded Spill
	s_nop 0
	buffer_store_dword v147, off, s[68:71], 0 offset:568 ; 4-byte Folded Spill
	v_mul_f64 v[146:147], v[122:123], s[56:57]
	v_fma_f64 v[132:133], v[116:117], s[58:59], v[128:129]
	buffer_store_dword v148, off, s[68:71], 0 offset:540 ; 4-byte Folded Spill
	s_nop 0
	buffer_store_dword v149, off, s[68:71], 0 offset:544 ; 4-byte Folded Spill
	v_fma_f64 v[134:135], v[118:119], s[26:27], v[130:131]
	buffer_store_dword v150, off, s[68:71], 0 offset:556 ; 4-byte Folded Spill
	s_nop 0
	buffer_store_dword v151, off, s[68:71], 0 offset:560 ; 4-byte Folded Spill
	buffer_store_dword v152, off, s[68:71], 0 offset:548 ; 4-byte Folded Spill
	s_nop 0
	buffer_store_dword v153, off, s[68:71], 0 offset:552 ; 4-byte Folded Spill
	;; [unrolled: 3-line block ×4, first 2 shown]
	v_fma_f64 v[148:149], v[28:29], s[12:13], v[146:147]
	v_add_f64 v[132:133], v[114:115], v[132:133]
	s_mov_b32 s63, 0x3fe9895b
	s_mov_b32 s62, s50
	buffer_store_dword v60, off, s[68:71], 0 offset:524 ; 4-byte Folded Spill
	s_nop 0
	buffer_store_dword v61, off, s[68:71], 0 offset:528 ; 4-byte Folded Spill
	buffer_store_dword v62, off, s[68:71], 0 offset:604 ; 4-byte Folded Spill
	s_nop 0
	buffer_store_dword v63, off, s[68:71], 0 offset:608 ; 4-byte Folded Spill
	v_mul_f64 v[62:63], v[6:7], s[50:51]
	buffer_store_dword v136, off, s[68:71], 0 offset:596 ; 4-byte Folded Spill
	s_nop 0
	buffer_store_dword v137, off, s[68:71], 0 offset:600 ; 4-byte Folded Spill
	buffer_store_dword v138, off, s[68:71], 0 offset:620 ; 4-byte Folded Spill
	s_nop 0
	buffer_store_dword v139, off, s[68:71], 0 offset:624 ; 4-byte Folded Spill
	v_add_f64 v[132:133], v[134:135], v[132:133]
	v_fma_f64 v[134:135], v[218:219], s[40:41], v[144:145]
	buffer_store_dword v230, off, s[68:71], 0 offset:628 ; 4-byte Folded Spill
	s_nop 0
	buffer_store_dword v231, off, s[68:71], 0 offset:632 ; 4-byte Folded Spill
	buffer_store_dword v140, off, s[68:71], 0 offset:636 ; 4-byte Folded Spill
	s_nop 0
	buffer_store_dword v141, off, s[68:71], 0 offset:640 ; 4-byte Folded Spill
	;; [unrolled: 3-line block ×3, first 2 shown]
	v_mov_b32_e32 v88, v79
	v_mov_b32_e32 v87, v78
	;; [unrolled: 1-line block ×4, first 2 shown]
	v_add_f64 v[134:135], v[112:113], v[134:135]
	v_mov_b32_e32 v76, v108
	v_mov_b32_e32 v77, v109
	;; [unrolled: 1-line block ×5, first 2 shown]
	s_mov_b32 s65, 0x3fefdd0d
	s_mov_b32 s64, s38
	v_add_f64 v[134:135], v[148:149], v[134:135]
	v_mul_f64 v[148:149], v[26:27], s[34:35]
	v_mov_b32_e32 v110, v82
	v_mov_b32_e32 v109, v81
	;; [unrolled: 1-line block ×7, first 2 shown]
	v_fma_f64 v[150:151], v[245:246], s[54:55], v[148:149]
	v_add_f64 v[132:133], v[150:151], v[132:133]
	v_mul_f64 v[150:151], v[253:254], s[48:49]
	v_fma_f64 v[152:153], v[24:25], s[34:35], v[150:151]
	v_add_f64 v[134:135], v[152:153], v[134:135]
	v_mul_f64 v[152:153], v[2:3], s[14:15]
	;; [unrolled: 3-line block ×4, first 2 shown]
	v_fma_f64 v[60:61], v[10:11], s[62:63], v[134:135]
	v_add_f64 v[60:61], v[60:61], v[132:133]
	v_fma_f64 v[132:133], v[202:203], s[36:37], v[62:63]
	v_fma_f64 v[62:63], v[202:203], s[36:37], -v[62:63]
	v_add_f64 v[58:59], v[132:133], v[58:59]
	v_mul_f64 v[132:133], v[8:9], s[18:19]
	v_fma_f64 v[136:137], v[14:15], s[30:31], v[132:133]
	v_add_f64 v[60:61], v[136:137], v[60:61]
	v_mul_f64 v[136:137], v[12:13], s[60:61]
	v_fma_f64 v[138:139], v[4:5], s[18:19], v[136:137]
	;; [unrolled: 3-line block ×6, first 2 shown]
	v_fma_f64 v[60:61], v[20:21], s[20:21], -v[60:61]
	v_add_f64 v[94:95], v[142:143], v[58:59]
	v_fma_f64 v[58:59], v[116:117], s[52:53], v[128:129]
	v_fma_f64 v[128:129], v[118:119], s[56:57], v[130:131]
	v_fma_f64 v[130:131], v[28:29], s[12:13], -v[146:147]
	buffer_store_dword v94, off, s[68:71], 0 offset:492 ; 4-byte Folded Spill
	s_nop 0
	buffer_store_dword v95, off, s[68:71], 0 offset:496 ; 4-byte Folded Spill
	buffer_store_dword v96, off, s[68:71], 0 offset:500 ; 4-byte Folded Spill
	;; [unrolled: 1-line block ×3, first 2 shown]
	v_add_f64 v[58:59], v[114:115], v[58:59]
	v_mov_b32_e32 v97, v83
	v_mov_b32_e32 v96, v82
	;; [unrolled: 1-line block ×7, first 2 shown]
	v_add_f64 v[58:59], v[128:129], v[58:59]
	v_fma_f64 v[128:129], v[218:219], s[40:41], -v[144:145]
	v_mov_b32_e32 v83, v111
	v_mov_b32_e32 v111, v79
	;; [unrolled: 1-line block ×7, first 2 shown]
	v_add_f64 v[128:129], v[112:113], v[128:129]
	v_mov_b32_e32 v78, v87
	v_mov_b32_e32 v79, v88
	v_mul_f64 v[142:143], v[122:123], s[60:61]
	v_add_f64 v[128:129], v[130:131], v[128:129]
	v_fma_f64 v[130:131], v[245:246], s[48:49], v[148:149]
	v_fma_f64 v[144:145], v[28:29], s[18:19], v[142:143]
	v_add_f64 v[58:59], v[130:131], v[58:59]
	v_fma_f64 v[130:131], v[24:25], s[34:35], -v[150:151]
	v_add_f64 v[128:129], v[130:131], v[128:129]
	v_fma_f64 v[130:131], v[247:248], s[44:45], v[152:153]
	v_add_f64 v[58:59], v[130:131], v[58:59]
	v_fma_f64 v[130:131], v[10:11], s[50:51], v[134:135]
	;; [unrolled: 2-line block ×4, first 2 shown]
	v_add_f64 v[58:59], v[130:131], v[58:59]
	v_fma_f64 v[130:131], v[0:1], s[14:15], -v[154:155]
	v_add_f64 v[128:129], v[130:131], v[128:129]
	v_add_f64 v[62:63], v[62:63], v[128:129]
	v_fma_f64 v[128:129], v[4:5], s[18:19], -v[136:137]
	v_add_f64 v[62:63], v[128:129], v[62:63]
	v_fma_f64 v[128:129], v[210:211], s[28:29], -v[230:231]
	v_add_f64 v[62:63], v[128:129], v[62:63]
	v_fma_f64 v[128:129], v[124:125], s[64:65], v[140:141]
	v_add_f64 v[85:86], v[60:61], v[62:63]
	v_add_f64 v[87:88], v[128:129], v[58:59]
	v_mul_f64 v[58:59], v[36:37], s[34:35]
	v_mul_f64 v[62:63], v[30:31], s[18:19]
	buffer_store_dword v85, off, s[68:71], 0 offset:580 ; 4-byte Folded Spill
	s_nop 0
	buffer_store_dword v86, off, s[68:71], 0 offset:584 ; 4-byte Folded Spill
	buffer_store_dword v87, off, s[68:71], 0 offset:588 ; 4-byte Folded Spill
	;; [unrolled: 1-line block ×3, first 2 shown]
	v_fma_f64 v[60:61], v[116:117], s[54:55], v[58:59]
	v_fma_f64 v[128:129], v[118:119], s[30:31], v[62:63]
	;; [unrolled: 1-line block ×4, first 2 shown]
	v_add_f64 v[60:61], v[114:115], v[60:61]
	v_add_f64 v[58:59], v[114:115], v[58:59]
	;; [unrolled: 1-line block ×3, first 2 shown]
	v_mul_f64 v[128:129], v[26:27], s[20:21]
	v_add_f64 v[58:59], v[62:63], v[58:59]
	v_fma_f64 v[130:131], v[245:246], s[64:65], v[128:129]
	v_fma_f64 v[62:63], v[245:246], s[38:39], v[128:129]
	v_fma_f64 v[128:129], v[28:29], s[18:19], -v[142:143]
	v_mul_f64 v[142:143], v[8:9], s[14:15]
	v_add_f64 v[60:61], v[130:131], v[60:61]
	v_mul_f64 v[130:131], v[2:3], s[36:37]
	v_add_f64 v[58:59], v[62:63], v[58:59]
	v_fma_f64 v[132:133], v[247:248], s[50:51], v[130:131]
	v_fma_f64 v[62:63], v[247:248], s[62:63], v[130:131]
	v_add_f64 v[60:61], v[132:133], v[60:61]
	v_mul_f64 v[132:133], v[204:205], s[12:13]
	v_add_f64 v[58:59], v[62:63], v[58:59]
	v_fma_f64 v[134:135], v[10:11], s[56:57], v[132:133]
	v_fma_f64 v[62:63], v[10:11], s[26:27], v[132:133]
	;; [unrolled: 5-line block ×4, first 2 shown]
	v_mul_f64 v[136:137], v[26:27], s[12:13]
	v_add_f64 v[60:61], v[138:139], v[60:61]
	v_mul_f64 v[138:139], v[120:121], s[48:49]
	v_add_f64 v[58:59], v[62:63], v[58:59]
	v_fma_f64 v[140:141], v[218:219], s[34:35], v[138:139]
	v_fma_f64 v[62:63], v[218:219], s[34:35], -v[138:139]
	v_mul_f64 v[138:139], v[2:3], s[34:35]
	v_add_f64 v[140:141], v[112:113], v[140:141]
	v_add_f64 v[62:63], v[112:113], v[62:63]
	;; [unrolled: 1-line block ×3, first 2 shown]
	v_mul_f64 v[144:145], v[253:254], s[38:39]
	v_add_f64 v[62:63], v[128:129], v[62:63]
	v_fma_f64 v[146:147], v[24:25], s[20:21], v[144:145]
	v_fma_f64 v[128:129], v[24:25], s[20:21], -v[144:145]
	v_mul_f64 v[144:145], v[212:213], s[40:41]
	v_add_f64 v[140:141], v[146:147], v[140:141]
	v_mul_f64 v[146:147], v[170:171], s[62:63]
	v_add_f64 v[62:63], v[128:129], v[62:63]
	v_fma_f64 v[148:149], v[0:1], s[36:37], v[146:147]
	v_fma_f64 v[128:129], v[0:1], s[36:37], -v[146:147]
	v_mul_f64 v[146:147], v[120:121], s[50:51]
	v_add_f64 v[140:141], v[148:149], v[140:141]
	;; [unrolled: 6-line block ×3, first 2 shown]
	v_mul_f64 v[150:151], v[12:13], s[52:53]
	v_add_f64 v[62:63], v[128:129], v[62:63]
	v_fma_f64 v[134:135], v[28:29], s[28:29], v[148:149]
	v_fma_f64 v[152:153], v[4:5], s[40:41], v[150:151]
	v_fma_f64 v[128:129], v[4:5], s[40:41], -v[150:151]
	v_mul_f64 v[150:151], v[253:254], s[26:27]
	v_add_f64 v[140:141], v[152:153], v[140:141]
	v_mul_f64 v[152:153], v[18:19], s[44:45]
	v_add_f64 v[62:63], v[128:129], v[62:63]
	v_fma_f64 v[154:155], v[210:211], s[14:15], v[152:153]
	v_fma_f64 v[128:129], v[210:211], s[14:15], -v[152:153]
	v_mul_f64 v[152:153], v[170:171], s[48:49]
	v_add_f64 v[140:141], v[154:155], v[140:141]
	v_mul_f64 v[154:155], v[22:23], s[28:29]
	v_add_f64 v[62:63], v[128:129], v[62:63]
	v_fma_f64 v[230:231], v[124:125], s[42:43], v[154:155]
	v_fma_f64 v[128:129], v[124:125], s[46:47], v[154:155]
	v_mul_f64 v[154:155], v[6:7], s[64:65]
	v_add_f64 v[87:88], v[230:231], v[60:61]
	v_mul_f64 v[60:61], v[32:33], s[46:47]
	v_add_f64 v[130:131], v[128:129], v[58:59]
	v_mul_f64 v[58:59], v[36:37], s[36:37]
	v_fma_f64 v[230:231], v[20:21], s[28:29], v[60:61]
	v_fma_f64 v[60:61], v[20:21], s[28:29], -v[60:61]
	v_add_f64 v[85:86], v[230:231], v[140:141]
	v_add_f64 v[128:129], v[60:61], v[62:63]
	v_fma_f64 v[60:61], v[116:117], s[62:63], v[58:59]
	v_mul_f64 v[62:63], v[30:31], s[28:29]
	v_mul_f64 v[140:141], v[204:205], s[20:21]
	v_fma_f64 v[58:59], v[116:117], s[50:51], v[58:59]
	v_mul_f64 v[230:231], v[12:13], s[22:23]
	buffer_store_dword v85, off, s[68:71], 0 offset:644 ; 4-byte Folded Spill
	s_nop 0
	buffer_store_dword v86, off, s[68:71], 0 offset:648 ; 4-byte Folded Spill
	buffer_store_dword v87, off, s[68:71], 0 offset:652 ; 4-byte Folded Spill
	;; [unrolled: 1-line block ×3, first 2 shown]
	v_mov_b32_e32 v86, v232
	v_add_f64 v[60:61], v[114:115], v[60:61]
	v_fma_f64 v[132:133], v[118:119], s[46:47], v[62:63]
	v_fma_f64 v[62:63], v[118:119], s[42:43], v[62:63]
	v_add_f64 v[58:59], v[114:115], v[58:59]
	buffer_store_dword v64, off, s[68:71], 0 offset:660 ; 4-byte Folded Spill
	s_nop 0
	buffer_store_dword v65, off, s[68:71], 0 offset:664 ; 4-byte Folded Spill
	v_mov_b32_e32 v87, v233
	v_mul_f64 v[232:233], v[18:19], s[52:53]
	v_mul_f64 v[64:65], v[22:23], s[18:19]
	buffer_store_dword v66, off, s[68:71], 0 offset:668 ; 4-byte Folded Spill
	s_nop 0
	buffer_store_dword v67, off, s[68:71], 0 offset:672 ; 4-byte Folded Spill
	v_add_f64 v[60:61], v[132:133], v[60:61]
	v_fma_f64 v[132:133], v[245:246], s[56:57], v[136:137]
	v_add_f64 v[58:59], v[62:63], v[58:59]
	v_fma_f64 v[62:63], v[245:246], s[26:27], v[136:137]
	buffer_store_dword v68, off, s[68:71], 0 offset:684 ; 4-byte Folded Spill
	s_nop 0
	buffer_store_dword v69, off, s[68:71], 0 offset:688 ; 4-byte Folded Spill
	v_mul_f64 v[68:69], v[12:13], s[64:65]
	v_fma_f64 v[66:67], v[124:125], s[30:31], v[64:65]
	v_fma_f64 v[64:65], v[124:125], s[60:61], v[64:65]
	buffer_store_dword v99, off, s[68:71], 0 offset:472 ; 4-byte Folded Spill
	buffer_store_dword v98, off, s[68:71], 0 offset:476 ; 4-byte Folded Spill
	v_add_f64 v[60:61], v[132:133], v[60:61]
	v_fma_f64 v[132:133], v[247:248], s[54:55], v[138:139]
	v_add_f64 v[58:59], v[62:63], v[58:59]
	v_fma_f64 v[62:63], v[247:248], s[48:49], v[138:139]
	buffer_store_dword v71, off, s[68:71], 0 offset:480 ; 4-byte Folded Spill
	buffer_store_dword v176, off, s[68:71], 0 offset:676 ; 4-byte Folded Spill
	s_nop 0
	buffer_store_dword v177, off, s[68:71], 0 offset:680 ; 4-byte Folded Spill
	v_fma_f64 v[70:71], v[4:5], s[20:21], v[68:69]
	v_mul_f64 v[176:177], v[18:19], s[26:27]
	v_mov_b32_e32 v98, v84
	v_add_f64 v[60:61], v[132:133], v[60:61]
	v_fma_f64 v[132:133], v[10:11], s[38:39], v[140:141]
	v_add_f64 v[58:59], v[62:63], v[58:59]
	v_fma_f64 v[62:63], v[10:11], s[64:65], v[140:141]
	v_mov_b32_e32 v84, v178
	v_mov_b32_e32 v85, v179
	v_mul_f64 v[178:179], v[22:23], s[36:37]
	v_mul_f64 v[12:13], v[12:13], s[48:49]
	;; [unrolled: 1-line block ×3, first 2 shown]
	v_add_f64 v[60:61], v[132:133], v[60:61]
	v_fma_f64 v[132:133], v[14:15], s[44:45], v[142:143]
	v_add_f64 v[58:59], v[62:63], v[58:59]
	v_fma_f64 v[62:63], v[14:15], s[22:23], v[142:143]
	;; [unrolled: 2-line block ×5, first 2 shown]
	v_add_f64 v[58:59], v[62:63], v[58:59]
	v_fma_f64 v[62:63], v[218:219], s[36:37], -v[146:147]
	v_add_f64 v[132:133], v[112:113], v[132:133]
	v_add_f64 v[146:147], v[64:65], v[58:59]
	v_add_f64 v[62:63], v[112:113], v[62:63]
	v_mul_f64 v[58:59], v[36:37], s[28:29]
	v_add_f64 v[132:133], v[134:135], v[132:133]
	v_fma_f64 v[134:135], v[24:25], s[12:13], v[150:151]
	v_add_f64 v[132:133], v[134:135], v[132:133]
	v_fma_f64 v[134:135], v[0:1], s[34:35], v[152:153]
	;; [unrolled: 2-line block ×5, first 2 shown]
	v_add_f64 v[132:133], v[134:135], v[132:133]
	v_add_f64 v[134:135], v[66:67], v[60:61]
	v_mul_f64 v[60:61], v[32:33], s[60:61]
	v_fma_f64 v[66:67], v[20:21], s[18:19], v[60:61]
	v_fma_f64 v[60:61], v[20:21], s[18:19], -v[60:61]
	v_add_f64 v[132:133], v[66:67], v[132:133]
	v_fma_f64 v[66:67], v[28:29], s[28:29], -v[148:149]
	v_add_f64 v[62:63], v[66:67], v[62:63]
	v_fma_f64 v[66:67], v[24:25], s[12:13], -v[150:151]
	v_add_f64 v[62:63], v[66:67], v[62:63]
	v_fma_f64 v[66:67], v[0:1], s[34:35], -v[152:153]
	v_mul_f64 v[152:153], v[122:123], s[54:55]
	v_mul_f64 v[122:123], v[122:123], s[52:53]
	v_add_f64 v[62:63], v[66:67], v[62:63]
	v_fma_f64 v[66:67], v[202:203], s[20:21], -v[154:155]
	v_fma_f64 v[150:151], v[28:29], s[34:35], v[152:153]
	v_mul_f64 v[154:155], v[253:254], s[44:45]
	v_add_f64 v[62:63], v[66:67], v[62:63]
	v_fma_f64 v[66:67], v[4:5], s[14:15], -v[230:231]
	v_mul_f64 v[230:231], v[170:171], s[30:31]
	v_add_f64 v[62:63], v[66:67], v[62:63]
	v_fma_f64 v[66:67], v[210:211], s[40:41], -v[232:233]
	v_mul_f64 v[232:233], v[6:7], s[52:53]
	v_mul_f64 v[6:7], v[6:7], s[30:31]
	v_add_f64 v[62:63], v[66:67], v[62:63]
	v_add_f64 v[144:145], v[60:61], v[62:63]
	v_fma_f64 v[60:61], v[116:117], s[42:43], v[58:59]
	v_mul_f64 v[62:63], v[30:31], s[34:35]
	v_fma_f64 v[58:59], v[116:117], s[46:47], v[58:59]
	v_add_f64 v[60:61], v[114:115], v[60:61]
	v_fma_f64 v[64:65], v[118:119], s[48:49], v[62:63]
	v_fma_f64 v[62:63], v[118:119], s[54:55], v[62:63]
	v_add_f64 v[58:59], v[114:115], v[58:59]
	v_add_f64 v[60:61], v[64:65], v[60:61]
	v_mul_f64 v[64:65], v[26:27], s[14:15]
	v_add_f64 v[58:59], v[62:63], v[58:59]
	v_fma_f64 v[66:67], v[245:246], s[22:23], v[64:65]
	v_fma_f64 v[62:63], v[245:246], s[44:45], v[64:65]
	v_fma_f64 v[64:65], v[28:29], s[34:35], -v[152:153]
	v_add_f64 v[60:61], v[66:67], v[60:61]
	v_mul_f64 v[66:67], v[2:3], s[18:19]
	v_add_f64 v[58:59], v[62:63], v[58:59]
	v_fma_f64 v[136:137], v[247:248], s[60:61], v[66:67]
	v_fma_f64 v[62:63], v[247:248], s[30:31], v[66:67]
	v_add_f64 v[60:61], v[136:137], v[60:61]
	v_mul_f64 v[136:137], v[204:205], s[40:41]
	v_add_f64 v[58:59], v[62:63], v[58:59]
	v_fma_f64 v[138:139], v[10:11], s[58:59], v[136:137]
	v_fma_f64 v[62:63], v[10:11], s[52:53], v[136:137]
	;; [unrolled: 5-line block ×4, first 2 shown]
	v_fma_f64 v[140:141], v[28:29], s[40:41], v[122:123]
	v_add_f64 v[60:61], v[142:143], v[60:61]
	v_mul_f64 v[142:143], v[120:121], s[46:47]
	v_add_f64 v[58:59], v[62:63], v[58:59]
	v_mul_f64 v[120:121], v[120:121], s[38:39]
	v_fma_f64 v[148:149], v[218:219], s[28:29], v[142:143]
	v_fma_f64 v[62:63], v[218:219], s[28:29], -v[142:143]
	v_add_f64 v[148:149], v[112:113], v[148:149]
	v_add_f64 v[62:63], v[112:113], v[62:63]
	;; [unrolled: 1-line block ×3, first 2 shown]
	v_fma_f64 v[150:151], v[24:25], s[14:15], v[154:155]
	v_add_f64 v[62:63], v[64:65], v[62:63]
	v_fma_f64 v[64:65], v[24:25], s[14:15], -v[154:155]
	v_add_f64 v[148:149], v[150:151], v[148:149]
	v_fma_f64 v[150:151], v[0:1], s[18:19], v[230:231]
	v_add_f64 v[62:63], v[64:65], v[62:63]
	v_fma_f64 v[64:65], v[0:1], s[18:19], -v[230:231]
	v_add_f64 v[148:149], v[150:151], v[148:149]
	v_fma_f64 v[150:151], v[202:203], s[40:41], v[232:233]
	v_add_f64 v[62:63], v[64:65], v[62:63]
	v_fma_f64 v[64:65], v[202:203], s[40:41], -v[232:233]
	v_add_f64 v[148:149], v[150:151], v[148:149]
	v_add_f64 v[62:63], v[64:65], v[62:63]
	v_fma_f64 v[64:65], v[4:5], s[20:21], -v[68:69]
	v_add_f64 v[70:71], v[70:71], v[148:149]
	v_fma_f64 v[148:149], v[210:211], s[12:13], v[176:177]
	v_add_f64 v[62:63], v[64:65], v[62:63]
	v_fma_f64 v[64:65], v[210:211], s[12:13], -v[176:177]
	v_add_f64 v[70:71], v[148:149], v[70:71]
	v_fma_f64 v[148:149], v[124:125], s[62:63], v[178:179]
	v_add_f64 v[62:63], v[64:65], v[62:63]
	v_fma_f64 v[64:65], v[124:125], s[50:51], v[178:179]
	v_add_f64 v[150:151], v[148:149], v[60:61]
	v_mul_f64 v[60:61], v[32:33], s[50:51]
	v_mul_f64 v[32:33], v[32:33], s[44:45]
	v_add_f64 v[154:155], v[64:65], v[58:59]
	v_mul_f64 v[58:59], v[36:37], s[20:21]
	v_fma_f64 v[148:149], v[20:21], s[36:37], v[60:61]
	v_fma_f64 v[60:61], v[20:21], s[36:37], -v[60:61]
	v_fma_f64 v[178:179], v[20:21], s[14:15], v[32:33]
	v_fma_f64 v[32:33], v[20:21], s[14:15], -v[32:33]
	v_add_f64 v[148:149], v[148:149], v[70:71]
	v_add_f64 v[152:153], v[60:61], v[62:63]
	v_fma_f64 v[60:61], v[116:117], s[64:65], v[58:59]
	v_mul_f64 v[62:63], v[30:31], s[40:41]
	v_fma_f64 v[58:59], v[116:117], s[38:39], v[58:59]
	v_mul_f64 v[116:117], v[253:254], s[42:43]
	v_add_f64 v[60:61], v[114:115], v[60:61]
	v_fma_f64 v[64:65], v[118:119], s[58:59], v[62:63]
	v_fma_f64 v[62:63], v[118:119], s[52:53], v[62:63]
	v_add_f64 v[58:59], v[114:115], v[58:59]
	v_add_f64 v[60:61], v[64:65], v[60:61]
	v_mul_f64 v[64:65], v[26:27], s[28:29]
	v_add_f64 v[58:59], v[62:63], v[58:59]
	v_mul_f64 v[62:63], v[170:171], s[56:57]
	v_mul_f64 v[170:171], v[22:23], s[12:13]
	v_fma_f64 v[66:67], v[245:246], s[46:47], v[64:65]
	v_fma_f64 v[64:65], v[245:246], s[42:43], v[64:65]
	;; [unrolled: 1-line block ×3, first 2 shown]
	v_fma_f64 v[62:63], v[0:1], s[12:13], -v[62:63]
	v_add_f64 v[60:61], v[66:67], v[60:61]
	v_mul_f64 v[66:67], v[2:3], s[12:13]
	v_add_f64 v[58:59], v[64:65], v[58:59]
	v_fma_f64 v[64:65], v[202:203], s[18:19], v[6:7]
	v_fma_f64 v[6:7], v[202:203], s[18:19], -v[6:7]
	v_fma_f64 v[68:69], v[247:248], s[26:27], v[66:67]
	v_fma_f64 v[66:67], v[247:248], s[56:57], v[66:67]
	v_add_f64 v[60:61], v[68:69], v[60:61]
	v_mul_f64 v[68:69], v[204:205], s[18:19]
	v_add_f64 v[58:59], v[66:67], v[58:59]
	v_fma_f64 v[66:67], v[4:5], s[34:35], v[12:13]
	v_fma_f64 v[12:13], v[4:5], s[34:35], -v[12:13]
	v_fma_f64 v[70:71], v[10:11], s[60:61], v[68:69]
	v_fma_f64 v[10:11], v[10:11], s[30:31], v[68:69]
	v_fma_f64 v[68:69], v[28:29], s[40:41], -v[122:123]
	v_mul_f64 v[122:123], v[4:5], s[28:29]
	v_add_f64 v[60:61], v[70:71], v[60:61]
	v_mul_f64 v[70:71], v[8:9], s[34:35]
	v_add_f64 v[10:11], v[10:11], v[58:59]
	v_fma_f64 v[58:59], v[210:211], s[36:37], v[18:19]
	v_fma_f64 v[136:137], v[14:15], s[54:55], v[70:71]
	;; [unrolled: 1-line block ×3, first 2 shown]
	v_mul_f64 v[70:71], v[204:205], s[28:29]
	v_add_f64 v[60:61], v[136:137], v[60:61]
	v_mul_f64 v[136:137], v[212:213], s[36:37]
	v_add_f64 v[10:11], v[14:15], v[10:11]
	v_mul_f64 v[14:15], v[22:23], s[14:15]
	v_fma_f64 v[138:139], v[126:127], s[50:51], v[136:137]
	v_add_f64 v[60:61], v[138:139], v[60:61]
	v_fma_f64 v[138:139], v[218:219], s[20:21], v[120:121]
	v_add_f64 v[138:139], v[112:113], v[138:139]
	v_add_f64 v[138:139], v[140:141], v[138:139]
	v_fma_f64 v[140:141], v[24:25], s[28:29], v[116:117]
	v_add_f64 v[138:139], v[140:141], v[138:139]
	v_mul_f64 v[140:141], v[20:21], s[40:41]
	v_add_f64 v[118:119], v[118:119], v[138:139]
	v_mul_f64 v[138:139], v[210:211], s[20:21]
	;; [unrolled: 2-line block ×3, first 2 shown]
	v_add_f64 v[64:65], v[66:67], v[64:65]
	v_fma_f64 v[66:67], v[124:125], s[22:23], v[14:15]
	v_fma_f64 v[14:15], v[124:125], s[44:45], v[14:15]
	v_mul_f64 v[124:125], v[210:211], s[34:35]
	v_add_f64 v[58:59], v[58:59], v[64:65]
	v_fma_f64 v[64:65], v[126:127], s[62:63], v[136:137]
	v_mul_f64 v[136:137], v[212:213], s[18:19]
	v_mul_f64 v[126:127], v[210:211], s[18:19]
	v_add_f64 v[10:11], v[64:65], v[10:11]
	v_fma_f64 v[64:65], v[218:219], s[20:21], -v[120:121]
	v_mul_f64 v[120:121], v[4:5], s[36:37]
	v_mul_f64 v[4:5], v[4:5], s[12:13]
	v_add_f64 v[64:65], v[112:113], v[64:65]
	v_add_f64 v[64:65], v[68:69], v[64:65]
	v_fma_f64 v[68:69], v[24:25], s[28:29], -v[116:117]
	v_mul_f64 v[116:117], v[202:203], s[34:35]
	v_add_f64 v[64:65], v[68:69], v[64:65]
	buffer_load_dword v68, off, s[68:71], 0 offset:448 ; 4-byte Folded Reload
	buffer_load_dword v69, off, s[68:71], 0 offset:452 ; 4-byte Folded Reload
	buffer_load_dword v142, off, s[68:71], 0 offset:416 ; 4-byte Folded Reload
	buffer_load_dword v143, off, s[68:71], 0 offset:420 ; 4-byte Folded Reload
	v_add_f64 v[62:63], v[62:63], v[64:65]
	v_mul_f64 v[64:65], v[2:3], s[20:21]
	v_add_f64 v[6:7], v[6:7], v[62:63]
	v_add_f64 v[6:7], v[12:13], v[6:7]
	v_fma_f64 v[12:13], v[210:211], s[36:37], -v[18:19]
	v_mul_f64 v[18:19], v[36:37], s[18:19]
	v_add_f64 v[62:63], v[12:13], v[6:7]
	v_mul_f64 v[6:7], v[212:213], s[20:21]
	v_add_f64 v[18:19], v[46:47], v[18:19]
	v_mul_f64 v[46:47], v[30:31], s[36:37]
	v_add_f64 v[12:13], v[56:57], v[6:7]
	v_mul_f64 v[6:7], v[26:27], s[40:41]
	v_add_f64 v[46:47], v[48:49], v[46:47]
	v_add_f64 v[18:19], v[114:115], v[18:19]
	v_mul_f64 v[48:49], v[28:29], s[36:37]
	v_mul_f64 v[56:57], v[0:1], s[20:21]
	v_add_f64 v[6:7], v[52:53], v[6:7]
	v_mul_f64 v[52:53], v[218:219], s[14:15]
	v_add_f64 v[18:19], v[46:47], v[18:19]
	v_mul_f64 v[46:47], v[2:3], s[28:29]
	v_add_f64 v[40:41], v[48:49], -v[40:41]
	v_mul_f64 v[48:49], v[24:25], s[40:41]
	v_add_f64 v[6:7], v[6:7], v[18:19]
	v_add_f64 v[46:47], v[50:51], v[46:47]
	v_mul_f64 v[18:19], v[204:205], s[14:15]
	v_add_f64 v[42:43], v[48:49], -v[42:43]
	v_mul_f64 v[48:49], v[8:9], s[12:13]
	v_mul_f64 v[50:51], v[36:37], s[12:13]
	v_add_f64 v[6:7], v[46:47], v[6:7]
	v_mul_f64 v[46:47], v[218:219], s[18:19]
	v_add_f64 v[18:19], v[54:55], v[18:19]
	v_add_f64 v[44:45], v[44:45], v[48:49]
	;; [unrolled: 1-line block ×3, first 2 shown]
	v_mul_f64 v[48:49], v[202:203], s[14:15]
	v_add_f64 v[46:47], v[46:47], -v[156:157]
	v_add_f64 v[18:19], v[18:19], v[6:7]
	v_mul_f64 v[6:7], v[36:37], s[14:15]
	v_add_f64 v[54:55], v[54:55], v[243:244]
	s_waitcnt vmcnt(0)
	v_add_f64 v[118:119], v[142:143], v[118:119]
	v_mul_f64 v[142:143], v[22:23], s[40:41]
	v_mul_f64 v[22:23], v[22:23], s[34:35]
	v_add_f64 v[34:35], v[48:49], -v[34:35]
	v_add_f64 v[46:47], v[112:113], v[46:47]
	v_mul_f64 v[156:157], v[20:21], s[12:13]
	v_add_f64 v[6:7], v[206:207], v[6:7]
	v_add_f64 v[54:55], v[54:55], v[234:235]
	v_mul_f64 v[20:21], v[20:21], s[34:35]
	v_mul_f64 v[36:37], v[28:29], s[14:15]
	;; [unrolled: 1-line block ×4, first 2 shown]
	v_add_f64 v[40:41], v[40:41], v[46:47]
	v_mul_f64 v[46:47], v[0:1], s[28:29]
	v_add_f64 v[6:7], v[114:115], v[6:7]
	v_add_f64 v[54:55], v[54:55], v[226:227]
	v_mul_f64 v[24:25], v[24:25], s[36:37]
	v_mul_f64 v[0:1], v[0:1], s[40:41]
	v_add_f64 v[40:41], v[42:43], v[40:41]
	v_mul_f64 v[42:43], v[2:3], s[40:41]
	v_add_f64 v[38:39], v[46:47], -v[38:39]
	v_add_f64 v[2:3], v[112:113], v[249:250]
	v_add_f64 v[54:55], v[54:55], v[222:223]
	v_mul_f64 v[46:47], v[218:219], s[12:13]
	v_add_f64 v[16:17], v[16:17], v[42:43]
	v_mul_f64 v[42:43], v[30:31], s[14:15]
	v_mul_f64 v[30:31], v[30:31], s[20:21]
	v_add_f64 v[38:39], v[38:39], v[40:41]
	v_mul_f64 v[40:41], v[26:27], s[36:37]
	v_add_f64 v[2:3], v[2:3], v[236:237]
	;; [unrolled: 2-line block ×3, first 2 shown]
	v_add_f64 v[34:35], v[34:35], v[38:39]
	v_add_f64 v[40:41], v[208:209], v[40:41]
	;; [unrolled: 1-line block ×3, first 2 shown]
	v_mul_f64 v[68:69], v[202:203], s[28:29]
	v_add_f64 v[6:7], v[30:31], v[6:7]
	v_mul_f64 v[30:31], v[8:9], s[36:37]
	v_mul_f64 v[8:9], v[8:9], s[28:29]
	v_add_f64 v[2:3], v[2:3], v[224:225]
	v_add_f64 v[6:7], v[40:41], v[6:7]
	v_mul_f64 v[40:41], v[212:213], s[34:35]
	v_add_f64 v[176:177], v[2:3], v[220:221]
	v_add_f64 v[2:3], v[66:67], v[60:61]
	;; [unrolled: 1-line block ×5, first 2 shown]
	buffer_load_dword v14, off, s[68:71], 0 offset:408 ; 4-byte Folded Reload
	buffer_load_dword v15, off, s[68:71], 0 offset:412 ; 4-byte Folded Reload
	;; [unrolled: 1-line block ×4, first 2 shown]
	v_add_f64 v[18:19], v[176:177], v[196:197]
	v_add_f64 v[10:11], v[12:13], v[10:11]
	s_waitcnt vmcnt(2)
	v_add_f64 v[8:9], v[14:15], v[8:9]
	v_add_f64 v[14:15], v[118:119], v[16:17]
	;; [unrolled: 1-line block ×3, first 2 shown]
	s_waitcnt vmcnt(0)
	v_add_f64 v[22:23], v[44:45], v[22:23]
	buffer_load_dword v44, off, s[68:71], 0 offset:432 ; 4-byte Folded Reload
	buffer_load_dword v45, off, s[68:71], 0 offset:436 ; 4-byte Folded Reload
	;; [unrolled: 1-line block ×4, first 2 shown]
	v_add_f64 v[8:9], v[8:9], v[14:15]
	v_add_f64 v[14:15], v[16:17], v[194:195]
	;; [unrolled: 1-line block ×3, first 2 shown]
	buffer_load_dword v18, off, s[68:71], 0 offset:440 ; 4-byte Folded Reload
	buffer_load_dword v19, off, s[68:71], 0 offset:444 ; 4-byte Folded Reload
	v_add_f64 v[10:11], v[22:23], v[10:11]
	s_waitcnt vmcnt(4)
	v_add_f64 v[4:5], v[4:5], -v[44:45]
	s_waitcnt vmcnt(2)
	v_add_f64 v[12:13], v[12:13], v[136:137]
	v_add_f64 v[44:45], v[52:53], -v[84:85]
	v_mov_b32_e32 v84, v98
	s_waitcnt vmcnt(0)
	v_add_f64 v[38:39], v[20:21], -v[18:19]
	buffer_load_dword v18, off, s[68:71], 0 offset:424 ; 4-byte Folded Reload
	buffer_load_dword v19, off, s[68:71], 0 offset:428 ; 4-byte Folded Reload
	v_add_f64 v[4:5], v[4:5], v[34:35]
	buffer_load_dword v20, off, s[68:71], 0 offset:400 ; 4-byte Folded Reload
	buffer_load_dword v21, off, s[68:71], 0 offset:404 ; 4-byte Folded Reload
	;; [unrolled: 1-line block ×4, first 2 shown]
	v_add_f64 v[8:9], v[12:13], v[8:9]
	v_add_f64 v[12:13], v[14:15], v[190:191]
	;; [unrolled: 1-line block ×3, first 2 shown]
	buffer_load_dword v16, off, s[68:71], 0 offset:668 ; 4-byte Folded Reload
	buffer_load_dword v17, off, s[68:71], 0 offset:672 ; 4-byte Folded Reload
	v_add_f64 v[44:45], v[112:113], v[44:45]
	v_add_f64 v[12:13], v[12:13], v[186:187]
	;; [unrolled: 1-line block ×14, first 2 shown]
	s_waitcnt vmcnt(6)
	v_add_f64 v[18:19], v[138:139], -v[18:19]
	s_waitcnt vmcnt(4)
	v_add_f64 v[20:21], v[20:21], v[170:171]
	s_waitcnt vmcnt(2)
	v_add_f64 v[34:35], v[34:35], v[50:51]
	s_waitcnt vmcnt(0)
	v_add_f64 v[16:17], v[46:47], -v[16:17]
	buffer_load_dword v46, off, s[68:71], 0 offset:628 ; 4-byte Folded Reload
	buffer_load_dword v47, off, s[68:71], 0 offset:632 ; 4-byte Folded Reload
	v_add_f64 v[4:5], v[18:19], v[4:5]
	v_add_f64 v[34:35], v[114:115], v[34:35]
	;; [unrolled: 1-line block ×3, first 2 shown]
	s_waitcnt vmcnt(0)
	v_add_f64 v[28:29], v[28:29], -v[46:47]
	buffer_load_dword v46, off, s[68:71], 0 offset:620 ; 4-byte Folded Reload
	buffer_load_dword v47, off, s[68:71], 0 offset:624 ; 4-byte Folded Reload
	v_add_f64 v[28:29], v[28:29], v[44:45]
	s_waitcnt vmcnt(0)
	v_add_f64 v[42:43], v[46:47], v[42:43]
	buffer_load_dword v46, off, s[68:71], 0 offset:684 ; 4-byte Folded Reload
	buffer_load_dword v47, off, s[68:71], 0 offset:688 ; 4-byte Folded Reload
	v_add_f64 v[34:35], v[42:43], v[34:35]
	s_waitcnt vmcnt(0)
	v_add_f64 v[36:37], v[36:37], -v[46:47]
	buffer_load_dword v46, off, s[68:71], 0 offset:384 ; 4-byte Folded Reload
	buffer_load_dword v47, off, s[68:71], 0 offset:388 ; 4-byte Folded Reload
	v_add_f64 v[16:17], v[36:37], v[16:17]
	s_waitcnt vmcnt(0)
	v_add_f64 v[24:25], v[24:25], -v[46:47]
	buffer_load_dword v46, off, s[68:71], 0 offset:516 ; 4-byte Folded Reload
	buffer_load_dword v47, off, s[68:71], 0 offset:520 ; 4-byte Folded Reload
	;; [unrolled: 1-line block ×6, first 2 shown]
	v_add_f64 v[24:25], v[24:25], v[28:29]
	s_waitcnt vmcnt(4)
	v_add_f64 v[26:27], v[46:47], v[26:27]
	s_waitcnt vmcnt(2)
	v_add_f64 v[42:43], v[48:49], -v[42:43]
	s_waitcnt vmcnt(0)
	v_add_f64 v[0:1], v[0:1], -v[36:37]
	buffer_load_dword v36, off, s[68:71], 0 offset:596 ; 4-byte Folded Reload
	buffer_load_dword v37, off, s[68:71], 0 offset:600 ; 4-byte Folded Reload
	v_add_f64 v[26:27], v[26:27], v[34:35]
	buffer_load_dword v34, off, s[68:71], 0 offset:660 ; 4-byte Folded Reload
	buffer_load_dword v35, off, s[68:71], 0 offset:664 ; 4-byte Folded Reload
	v_add_f64 v[16:17], v[42:43], v[16:17]
	buffer_load_dword v28, off, s[68:71], 0 offset:368 ; 4-byte Folded Reload
	buffer_load_dword v29, off, s[68:71], 0 offset:372 ; 4-byte Folded Reload
	;; [unrolled: 1-line block ×4, first 2 shown]
	v_add_f64 v[0:1], v[0:1], v[24:25]
	v_add_f64 v[24:25], v[122:123], -v[86:87]
	s_waitcnt vmcnt(6)
	v_add_f64 v[36:37], v[36:37], v[64:65]
	s_waitcnt vmcnt(4)
	v_add_f64 v[34:35], v[56:57], -v[34:35]
	v_add_f64 v[26:27], v[36:37], v[26:27]
	s_waitcnt vmcnt(0)
	v_add_f64 v[42:43], v[42:43], v[70:71]
	buffer_load_dword v71, off, s[68:71], 0 offset:480 ; 4-byte Folded Reload
	buffer_load_dword v98, off, s[68:71], 0 offset:476 ; 4-byte Folded Reload
	;; [unrolled: 1-line block ×5, first 2 shown]
	v_add_f64 v[28:29], v[116:117], -v[28:29]
	v_add_f64 v[16:17], v[34:35], v[16:17]
	buffer_load_dword v34, off, s[68:71], 0 offset:556 ; 4-byte Folded Reload
	buffer_load_dword v35, off, s[68:71], 0 offset:560 ; 4-byte Folded Reload
	v_add_f64 v[26:27], v[42:43], v[26:27]
	v_add_f64 v[0:1], v[28:29], v[0:1]
	;; [unrolled: 1-line block ×3, first 2 shown]
	s_waitcnt vmcnt(2)
	v_add_f64 v[36:37], v[68:69], -v[36:37]
	s_waitcnt vmcnt(0)
	v_add_f64 v[30:31], v[34:35], v[30:31]
	buffer_load_dword v34, off, s[68:71], 0 offset:540 ; 4-byte Folded Reload
	buffer_load_dword v35, off, s[68:71], 0 offset:544 ; 4-byte Folded Reload
	;; [unrolled: 1-line block ×4, first 2 shown]
	v_add_f64 v[16:17], v[36:37], v[16:17]
	buffer_load_dword v36, off, s[68:71], 0 offset:548 ; 4-byte Folded Reload
	buffer_load_dword v37, off, s[68:71], 0 offset:552 ; 4-byte Folded Reload
	v_add_f64 v[26:27], v[30:31], v[26:27]
	buffer_load_dword v30, off, s[68:71], 0 offset:484 ; 4-byte Folded Reload
	buffer_load_dword v31, off, s[68:71], 0 offset:488 ; 4-byte Folded Reload
	;; [unrolled: 1-line block ×4, first 2 shown]
	s_waitcnt vmcnt(8)
	v_add_f64 v[34:35], v[120:121], -v[34:35]
	s_waitcnt vmcnt(6)
	v_add_f64 v[28:29], v[126:127], -v[28:29]
	s_waitcnt vmcnt(4)
	v_add_f64 v[36:37], v[36:37], v[40:41]
	v_add_f64 v[40:41], v[14:15], v[164:165]
	;; [unrolled: 1-line block ×4, first 2 shown]
	buffer_load_dword v34, off, s[68:71], 0 offset:676 ; 4-byte Folded Reload
	buffer_load_dword v35, off, s[68:71], 0 offset:680 ; 4-byte Folded Reload
	s_waitcnt vmcnt(2)
	v_add_f64 v[24:25], v[156:157], -v[24:25]
	v_add_f64 v[0:1], v[28:29], v[0:1]
	v_add_f64 v[30:31], v[124:125], -v[30:31]
	v_add_f64 v[26:27], v[36:37], v[26:27]
	buffer_load_dword v36, off, s[68:71], 0 offset:532 ; 4-byte Folded Reload
	buffer_load_dword v37, off, s[68:71], 0 offset:536 ; 4-byte Folded Reload
	;; [unrolled: 1-line block ×4, first 2 shown]
	v_add_f64 v[16:17], v[30:31], v[16:17]
	s_waitcnt vmcnt(4)
	v_add_f64 v[34:35], v[34:35], v[142:143]
	s_waitcnt vmcnt(2)
	v_add_f64 v[36:37], v[140:141], -v[36:37]
	s_waitcnt vmcnt(0)
	v_add_f64 v[22:23], v[12:13], v[8:9]
	buffer_load_dword v8, off, s[68:71], 0 offset:508 ; 4-byte Folded Reload
	buffer_load_dword v9, off, s[68:71], 0 offset:512 ; 4-byte Folded Reload
	v_add_f64 v[12:13], v[24:25], v[0:1]
	buffer_load_dword v24, off, s[68:71], 0 offset:232 ; 4-byte Folded Reload
	buffer_load_dword v25, off, s[68:71], 0 offset:236 ; 4-byte Folded Reload
	v_add_f64 v[18:19], v[34:35], v[26:27]
	v_add_f64 v[0:1], v[178:179], v[58:59]
	v_add_f64 v[16:17], v[36:37], v[16:17]
	s_waitcnt vmcnt(2)
	v_add_f64 v[20:21], v[40:41], v[8:9]
	v_add_f64 v[8:9], v[38:39], v[4:5]
	v_add_f64 v[4:5], v[32:33], v[62:63]
	s_waitcnt vmcnt(1)
	v_mul_u32_u24_e32 v24, 51, v24
	s_waitcnt vmcnt(0)
	v_add_lshl_u32 v24, v24, v25, 4
	ds_write_b128 v24, v[20:23]
	ds_write_b128 v24, v[16:19] offset:48
	ds_write_b128 v24, v[12:15] offset:96
	;; [unrolled: 1-line block ×7, first 2 shown]
	buffer_load_dword v4, off, s[68:71], 0 offset:580 ; 4-byte Folded Reload
	buffer_load_dword v5, off, s[68:71], 0 offset:584 ; 4-byte Folded Reload
	buffer_load_dword v6, off, s[68:71], 0 offset:588 ; 4-byte Folded Reload
	buffer_load_dword v7, off, s[68:71], 0 offset:592 ; 4-byte Folded Reload
	s_waitcnt vmcnt(0)
	ds_write_b128 v24, v[4:7] offset:384
	buffer_load_dword v4, off, s[68:71], 0 offset:492 ; 4-byte Folded Reload
	buffer_load_dword v5, off, s[68:71], 0 offset:496 ; 4-byte Folded Reload
	buffer_load_dword v6, off, s[68:71], 0 offset:500 ; 4-byte Folded Reload
	buffer_load_dword v7, off, s[68:71], 0 offset:504 ; 4-byte Folded Reload
	s_waitcnt vmcnt(0)
	ds_write_b128 v24, v[4:7] offset:432
	;; [unrolled: 6-line block ×3, first 2 shown]
	ds_write_b128 v24, v[132:135] offset:528
	ds_write_b128 v24, v[148:151] offset:576
	;; [unrolled: 1-line block ×4, first 2 shown]
	buffer_load_dword v0, off, s[68:71], 0 offset:16 ; 4-byte Folded Reload
	buffer_load_dword v1, off, s[68:71], 0 offset:20 ; 4-byte Folded Reload
	;; [unrolled: 1-line block ×4, first 2 shown]
	s_waitcnt vmcnt(0)
	ds_write_b128 v24, v[0:3] offset:720
	buffer_load_dword v0, off, s[68:71], 0  ; 4-byte Folded Reload
	buffer_load_dword v1, off, s[68:71], 0 offset:4 ; 4-byte Folded Reload
	buffer_load_dword v2, off, s[68:71], 0 offset:8 ; 4-byte Folded Reload
	;; [unrolled: 1-line block ×3, first 2 shown]
	s_waitcnt vmcnt(0)
	ds_write_b128 v24, v[0:3] offset:768
.LBB0_11:
	s_or_b64 exec, exec, s[24:25]
	v_mov_b32_e32 v0, s17
	v_addc_co_u32_e64 v40, s[2:3], 0, v0, s[2:3]
	v_mov_b32_e32 v54, s5
	s_movk_i32 s2, 0x60
	v_mov_b32_e32 v53, s4
	v_mad_u64_u32 v[152:153], s[2:3], v240, s2, v[53:54]
	s_waitcnt lgkmcnt(0)
	; wave barrier
	s_waitcnt lgkmcnt(0)
	ds_read_b128 v[41:44], v255
	ds_read_b128 v[0:3], v255 offset:1632
	ds_read_b128 v[4:7], v255 offset:3264
	;; [unrolled: 1-line block ×13, first 2 shown]
	global_load_dwordx4 v[116:119], v[152:153], off offset:816
	global_load_dwordx4 v[120:123], v[152:153], off offset:800
	;; [unrolled: 1-line block ×6, first 2 shown]
	s_mov_b32 s2, 0x37e14327
	s_mov_b32 s4, 0x36b3c0b5
	;; [unrolled: 1-line block ×20, first 2 shown]
	s_waitcnt lgkmcnt(0)
	; wave barrier
	s_waitcnt vmcnt(2) lgkmcnt(0)
	v_mul_f64 v[53:54], v[2:3], v[130:131]
	v_fma_f64 v[53:54], v[0:1], v[128:129], -v[53:54]
	v_mul_f64 v[0:1], v[0:1], v[130:131]
	v_fma_f64 v[55:56], v[2:3], v[128:129], v[0:1]
	v_mul_f64 v[0:1], v[6:7], v[126:127]
	v_mul_f64 v[2:3], v[24:25], v[130:131]
	v_fma_f64 v[57:58], v[4:5], v[124:125], -v[0:1]
	v_mul_f64 v[0:1], v[4:5], v[126:127]
	v_mul_f64 v[4:5], v[28:29], v[126:127]
	v_fma_f64 v[59:60], v[6:7], v[124:125], v[0:1]
	v_mul_f64 v[0:1], v[10:11], v[122:123]
	v_fma_f64 v[6:7], v[26:27], v[128:129], v[2:3]
	v_mul_f64 v[2:3], v[30:31], v[126:127]
	v_fma_f64 v[61:62], v[8:9], v[120:121], -v[0:1]
	v_mul_f64 v[0:1], v[8:9], v[122:123]
	v_fma_f64 v[2:3], v[28:29], v[124:125], -v[2:3]
	v_fma_f64 v[8:9], v[30:31], v[124:125], v[4:5]
	v_mul_f64 v[4:5], v[34:35], v[122:123]
	v_fma_f64 v[63:64], v[10:11], v[120:121], v[0:1]
	v_mul_f64 v[0:1], v[14:15], v[118:119]
	v_mul_f64 v[10:11], v[32:33], v[122:123]
	v_fma_f64 v[4:5], v[32:33], v[120:121], -v[4:5]
	v_fma_f64 v[65:66], v[12:13], v[116:117], -v[0:1]
	v_mul_f64 v[0:1], v[12:13], v[118:119]
	v_mul_f64 v[12:13], v[38:39], v[118:119]
	v_fma_f64 v[10:11], v[34:35], v[120:121], v[10:11]
	v_fma_f64 v[67:68], v[14:15], v[116:117], v[0:1]
	s_waitcnt vmcnt(0)
	v_mul_f64 v[0:1], v[18:19], v[134:135]
	v_mul_f64 v[14:15], v[36:37], v[118:119]
	v_fma_f64 v[12:13], v[36:37], v[116:117], -v[12:13]
	v_fma_f64 v[69:70], v[16:17], v[132:133], -v[0:1]
	v_mul_f64 v[0:1], v[16:17], v[134:135]
	v_mul_f64 v[16:17], v[47:48], v[134:135]
	v_fma_f64 v[14:15], v[38:39], v[116:117], v[14:15]
	v_add_f64 v[28:29], v[57:58], v[69:70]
	v_fma_f64 v[136:137], v[18:19], v[132:133], v[0:1]
	v_mul_f64 v[0:1], v[22:23], v[114:115]
	v_mul_f64 v[18:19], v[45:46], v[134:135]
	v_fma_f64 v[16:17], v[45:46], v[132:133], -v[16:17]
	v_add_f64 v[36:37], v[57:58], -v[69:70]
	v_add_f64 v[30:31], v[59:60], v[136:137]
	v_fma_f64 v[138:139], v[20:21], v[112:113], -v[0:1]
	v_mul_f64 v[0:1], v[20:21], v[114:115]
	v_mul_f64 v[20:21], v[51:52], v[114:115]
	v_fma_f64 v[18:19], v[47:48], v[132:133], v[18:19]
	v_add_f64 v[38:39], v[59:60], -v[136:137]
	v_add_f64 v[45:46], v[53:54], -v[138:139]
	v_fma_f64 v[140:141], v[22:23], v[112:113], v[0:1]
	v_mul_f64 v[0:1], v[26:27], v[130:131]
	v_mul_f64 v[22:23], v[49:50], v[114:115]
	v_fma_f64 v[20:21], v[49:50], v[112:113], -v[20:21]
	v_add_f64 v[49:50], v[61:62], v[65:66]
	v_add_f64 v[26:27], v[55:56], v[140:141]
	v_fma_f64 v[0:1], v[24:25], v[128:129], -v[0:1]
	v_add_f64 v[24:25], v[53:54], v[138:139]
	v_fma_f64 v[22:23], v[51:52], v[112:113], v[22:23]
	v_add_f64 v[47:48], v[55:56], -v[140:141]
	v_add_f64 v[51:52], v[63:64], v[67:68]
	v_add_f64 v[53:54], v[65:66], -v[61:62]
	v_add_f64 v[55:56], v[67:68], -v[63:64]
	v_add_f64 v[59:60], v[30:31], v[26:27]
	v_add_f64 v[65:66], v[49:50], -v[28:29]
	v_add_f64 v[57:58], v[28:29], v[24:25]
	v_add_f64 v[32:33], v[28:29], -v[24:25]
	v_add_f64 v[61:62], v[24:25], -v[49:50]
	v_add_f64 v[63:64], v[26:27], -v[51:52]
	v_add_f64 v[67:68], v[51:52], -v[30:31]
	v_add_f64 v[24:25], v[53:54], v[36:37]
	v_add_f64 v[69:70], v[55:56], v[38:39]
	v_add_f64 v[136:137], v[53:54], -v[36:37]
	v_add_f64 v[138:139], v[55:56], -v[38:39]
	;; [unrolled: 1-line block ×4, first 2 shown]
	v_add_f64 v[49:50], v[49:50], v[57:58]
	v_add_f64 v[51:52], v[51:52], v[59:60]
	v_add_f64 v[34:35], v[30:31], -v[26:27]
	v_add_f64 v[28:29], v[45:46], -v[53:54]
	;; [unrolled: 1-line block ×3, first 2 shown]
	v_add_f64 v[26:27], v[24:25], v[45:46]
	v_add_f64 v[24:25], v[69:70], v[47:48]
	v_mul_f64 v[45:46], v[65:66], s[4:5]
	v_add_f64 v[148:149], v[41:42], v[49:50]
	v_add_f64 v[150:151], v[43:44], v[51:52]
	v_mul_f64 v[41:42], v[61:62], s[2:3]
	v_mul_f64 v[43:44], v[63:64], s[2:3]
	;; [unrolled: 1-line block ×7, first 2 shown]
	v_fma_f64 v[49:50], v[49:50], s[16:17], v[148:149]
	v_fma_f64 v[51:52], v[51:52], s[16:17], v[150:151]
	;; [unrolled: 1-line block ×4, first 2 shown]
	v_fma_f64 v[45:46], v[32:33], s[18:19], -v[45:46]
	v_fma_f64 v[47:48], v[34:35], s[18:19], -v[47:48]
	;; [unrolled: 1-line block ×4, first 2 shown]
	v_fma_f64 v[41:42], v[28:29], s[24:25], v[53:54]
	v_fma_f64 v[43:44], v[30:31], s[24:25], v[55:56]
	v_fma_f64 v[36:37], v[36:37], s[12:13], -v[53:54]
	v_fma_f64 v[28:29], v[28:29], s[26:27], -v[57:58]
	;; [unrolled: 1-line block ×4, first 2 shown]
	v_add_f64 v[53:54], v[61:62], v[49:50]
	v_add_f64 v[55:56], v[63:64], v[51:52]
	;; [unrolled: 1-line block ×6, first 2 shown]
	v_fma_f64 v[57:58], v[26:27], s[22:23], v[41:42]
	v_fma_f64 v[59:60], v[24:25], s[22:23], v[43:44]
	;; [unrolled: 1-line block ×6, first 2 shown]
	v_add_f64 v[26:27], v[55:56], -v[57:58]
	v_add_f64 v[24:25], v[59:60], v[53:54]
	v_add_f64 v[34:35], v[41:42], v[47:48]
	v_add_f64 v[30:31], v[51:52], -v[43:44]
	v_add_f64 v[28:29], v[61:62], v[49:50]
	v_add_f64 v[38:39], v[47:48], -v[41:42]
	v_add_f64 v[41:42], v[49:50], -v[61:62]
	v_add_f64 v[43:44], v[43:44], v[51:52]
	v_add_f64 v[49:50], v[0:1], v[20:21]
	;; [unrolled: 1-line block ×3, first 2 shown]
	v_add_f64 v[0:1], v[0:1], -v[20:21]
	v_add_f64 v[6:7], v[6:7], -v[22:23]
	v_add_f64 v[20:21], v[2:3], v[16:17]
	v_add_f64 v[22:23], v[8:9], v[18:19]
	v_add_f64 v[2:3], v[2:3], -v[16:17]
	v_add_f64 v[8:9], v[8:9], -v[18:19]
	v_add_f64 v[16:17], v[4:5], v[12:13]
	v_add_f64 v[18:19], v[10:11], v[14:15]
	;; [unrolled: 4-line block ×3, first 2 shown]
	v_add_f64 v[32:33], v[45:46], -v[36:37]
	v_add_f64 v[36:37], v[36:37], v[45:46]
	v_add_f64 v[45:46], v[53:54], -v[59:60]
	v_add_f64 v[47:48], v[57:58], v[55:56]
	v_add_f64 v[53:54], v[20:21], -v[49:50]
	v_add_f64 v[55:56], v[22:23], -v[51:52]
	;; [unrolled: 1-line block ×6, first 2 shown]
	v_add_f64 v[57:58], v[4:5], v[2:3]
	v_add_f64 v[59:60], v[10:11], v[8:9]
	v_add_f64 v[61:62], v[4:5], -v[2:3]
	v_add_f64 v[63:64], v[10:11], -v[8:9]
	;; [unrolled: 1-line block ×4, first 2 shown]
	v_add_f64 v[12:13], v[16:17], v[12:13]
	v_add_f64 v[14:15], v[18:19], v[14:15]
	v_add_f64 v[4:5], v[0:1], -v[4:5]
	v_add_f64 v[10:11], v[6:7], -v[10:11]
	v_add_f64 v[16:17], v[57:58], v[0:1]
	v_add_f64 v[6:7], v[59:60], v[6:7]
	v_mul_f64 v[18:19], v[49:50], s[2:3]
	v_mul_f64 v[49:50], v[51:52], s[2:3]
	v_add_f64 v[0:1], v[144:145], v[12:13]
	v_add_f64 v[2:3], v[146:147], v[14:15]
	v_mul_f64 v[51:52], v[20:21], s[4:5]
	v_mul_f64 v[57:58], v[22:23], s[4:5]
	;; [unrolled: 1-line block ×6, first 2 shown]
	v_fma_f64 v[12:13], v[12:13], s[16:17], v[0:1]
	v_fma_f64 v[14:15], v[14:15], s[16:17], v[2:3]
	;; [unrolled: 1-line block ×4, first 2 shown]
	v_fma_f64 v[51:52], v[53:54], s[18:19], -v[51:52]
	v_fma_f64 v[57:58], v[55:56], s[18:19], -v[57:58]
	;; [unrolled: 1-line block ×4, first 2 shown]
	v_fma_f64 v[53:54], v[4:5], s[24:25], v[59:60]
	v_fma_f64 v[55:56], v[10:11], s[24:25], v[61:62]
	v_fma_f64 v[59:60], v[65:66], s[12:13], -v[59:60]
	v_fma_f64 v[8:9], v[8:9], s[12:13], -v[61:62]
	;; [unrolled: 1-line block ×4, first 2 shown]
	v_add_f64 v[61:62], v[20:21], v[12:13]
	v_add_f64 v[63:64], v[22:23], v[14:15]
	;; [unrolled: 1-line block ×6, first 2 shown]
	v_fma_f64 v[53:54], v[16:17], s[22:23], v[53:54]
	v_fma_f64 v[55:56], v[6:7], s[22:23], v[55:56]
	;; [unrolled: 1-line block ×6, first 2 shown]
	s_movk_i32 s12, 0x1000
	s_movk_i32 s13, 0x2000
	v_add_f64 v[6:7], v[63:64], -v[53:54]
	v_add_f64 v[4:5], v[55:56], v[61:62]
	v_add_f64 v[14:15], v[18:19], v[22:23]
	v_add_f64 v[12:13], v[20:21], -v[57:58]
	v_add_f64 v[10:11], v[49:50], -v[59:60]
	v_add_f64 v[8:9], v[65:66], v[51:52]
	v_add_f64 v[16:17], v[57:58], v[20:21]
	v_add_f64 v[18:19], v[22:23], -v[18:19]
	v_add_f64 v[20:21], v[51:52], -v[65:66]
	v_add_f64 v[22:23], v[59:60], v[49:50]
	v_add_f64 v[49:50], v[61:62], -v[55:56]
	v_add_f64 v[51:52], v[53:54], v[63:64]
	ds_write_b128 v255, v[148:151]
	ds_write_b128 v255, v[24:27] offset:816
	ds_write_b128 v255, v[28:31] offset:1632
	;; [unrolled: 1-line block ×13, first 2 shown]
	v_mul_i32_i24_e32 v37, 0xffffffb0, v240
	v_mul_hi_i32_i24_e32 v36, 0xffffffb0, v240
	v_add_co_u32_e64 v47, s[2:3], v152, v37
	v_addc_co_u32_e64 v48, s[2:3], v153, v36, s[2:3]
	v_add_co_u32_e64 v36, s[2:3], s12, v47
	v_addc_co_u32_e64 v37, s[2:3], 0, v48, s[2:3]
	s_waitcnt lgkmcnt(0)
	; wave barrier
	s_waitcnt lgkmcnt(0)
	ds_read_b128 v[0:3], v255
	ds_read_b128 v[4:7], v255 offset:5712
	ds_read_b128 v[8:11], v255 offset:816
	;; [unrolled: 1-line block ×13, first 2 shown]
	global_load_dwordx4 v[136:139], v[36:37], off offset:1568
	global_load_dwordx4 v[140:143], v[36:37], off offset:2384
	;; [unrolled: 1-line block ×4, first 2 shown]
	s_waitcnt vmcnt(3) lgkmcnt(12)
	v_mul_f64 v[38:39], v[6:7], v[138:139]
	v_fma_f64 v[38:39], v[4:5], v[136:137], -v[38:39]
	v_mul_f64 v[4:5], v[4:5], v[138:139]
	v_fma_f64 v[6:7], v[6:7], v[136:137], v[4:5]
	s_waitcnt vmcnt(2) lgkmcnt(10)
	v_mul_f64 v[4:5], v[14:15], v[142:143]
	v_add_f64 v[6:7], v[2:3], -v[6:7]
	v_fma_f64 v[41:42], v[12:13], v[140:141], -v[4:5]
	v_mul_f64 v[4:5], v[12:13], v[142:143]
	v_fma_f64 v[2:3], v[2:3], 2.0, -v[6:7]
	v_fma_f64 v[14:15], v[14:15], v[140:141], v[4:5]
	s_waitcnt vmcnt(1) lgkmcnt(8)
	v_mul_f64 v[4:5], v[18:19], v[154:155]
	v_add_f64 v[14:15], v[10:11], -v[14:15]
	v_fma_f64 v[43:44], v[16:17], v[152:153], -v[4:5]
	v_mul_f64 v[4:5], v[16:17], v[154:155]
	v_fma_f64 v[10:11], v[10:11], 2.0, -v[14:15]
	v_add_f64 v[16:17], v[192:193], -v[43:44]
	v_fma_f64 v[18:19], v[18:19], v[152:153], v[4:5]
	s_waitcnt vmcnt(0) lgkmcnt(6)
	v_mul_f64 v[4:5], v[22:23], v[158:159]
	v_add_f64 v[18:19], v[194:195], -v[18:19]
	v_fma_f64 v[36:37], v[20:21], v[156:157], -v[4:5]
	v_mul_f64 v[4:5], v[20:21], v[158:159]
	v_fma_f64 v[20:21], v[192:193], 2.0, -v[16:17]
	v_fma_f64 v[45:46], v[22:23], v[156:157], v[4:5]
	v_add_co_u32_e64 v4, s[2:3], s13, v47
	v_addc_co_u32_e64 v5, s[2:3], 0, v48, s[2:3]
	global_load_dwordx4 v[164:167], v[4:5], off offset:736
	global_load_dwordx4 v[172:175], v[4:5], off offset:1552
	;; [unrolled: 1-line block ×3, first 2 shown]
	v_fma_f64 v[22:23], v[194:195], 2.0, -v[18:19]
	s_movk_i32 s2, 0x2ca0
	s_waitcnt vmcnt(2) lgkmcnt(4)
	v_mul_f64 v[12:13], v[26:27], v[166:167]
	s_waitcnt vmcnt(0) lgkmcnt(0)
	v_mul_f64 v[4:5], v[34:35], v[170:171]
	v_fma_f64 v[47:48], v[24:25], v[164:165], -v[12:13]
	v_mul_f64 v[12:13], v[24:25], v[166:167]
	v_fma_f64 v[55:56], v[32:33], v[168:169], -v[4:5]
	v_mul_f64 v[4:5], v[32:33], v[170:171]
	v_add_f64 v[24:25], v[188:189], -v[36:37]
	v_add_f64 v[32:33], v[184:185], -v[47:48]
	v_fma_f64 v[49:50], v[26:27], v[164:165], v[12:13]
	v_mul_f64 v[12:13], v[30:31], v[174:175]
	v_fma_f64 v[57:58], v[34:35], v[168:169], v[4:5]
	v_add_f64 v[4:5], v[0:1], -v[38:39]
	v_add_f64 v[26:27], v[190:191], -v[45:46]
	v_fma_f64 v[36:37], v[184:185], 2.0, -v[32:33]
	v_add_f64 v[34:35], v[186:187], -v[49:50]
	v_fma_f64 v[51:52], v[28:29], v[172:173], -v[12:13]
	v_mul_f64 v[12:13], v[28:29], v[174:175]
	v_fma_f64 v[0:1], v[0:1], 2.0, -v[4:5]
	v_fma_f64 v[28:29], v[188:189], 2.0, -v[24:25]
	;; [unrolled: 1-line block ×3, first 2 shown]
	v_fma_f64 v[53:54], v[30:31], v[172:173], v[12:13]
	v_add_f64 v[12:13], v[8:9], -v[41:42]
	v_add_f64 v[41:42], v[180:181], -v[51:52]
	v_fma_f64 v[30:31], v[190:191], 2.0, -v[26:27]
	v_add_f64 v[43:44], v[182:183], -v[53:54]
	v_fma_f64 v[8:9], v[8:9], 2.0, -v[12:13]
	v_fma_f64 v[45:46], v[180:181], 2.0, -v[41:42]
	v_add_f64 v[180:181], v[176:177], -v[55:56]
	v_fma_f64 v[47:48], v[182:183], 2.0, -v[43:44]
	v_add_f64 v[182:183], v[178:179], -v[57:58]
	v_fma_f64 v[184:185], v[176:177], 2.0, -v[180:181]
	v_fma_f64 v[186:187], v[178:179], 2.0, -v[182:183]
	ds_write_b128 v255, v[0:3]
	ds_write_b128 v255, v[4:7] offset:5712
	ds_write_b128 v255, v[8:11] offset:816
	ds_write_b128 v255, v[12:15] offset:6528
	ds_write_b128 v255, v[20:23] offset:1632
	ds_write_b128 v255, v[16:19] offset:7344
	ds_write_b128 v255, v[28:31] offset:2448
	ds_write_b128 v255, v[24:27] offset:8160
	ds_write_b128 v255, v[36:39] offset:3264
	ds_write_b128 v255, v[32:35] offset:8976
	ds_write_b128 v255, v[45:48] offset:4080
	ds_write_b128 v255, v[41:44] offset:9792
	ds_write_b128 v255, v[184:187] offset:4896
	ds_write_b128 v255, v[180:183] offset:10608
	v_add_co_u32_e64 v0, s[2:3], s2, v238
	v_addc_co_u32_e64 v1, s[2:3], 0, v40, s[2:3]
	v_add_co_u32_e64 v6, s[2:3], s13, v238
	v_addc_co_u32_e64 v7, s[2:3], 0, v40, s[2:3]
	s_waitcnt lgkmcnt(0)
	; wave barrier
	s_waitcnt lgkmcnt(0)
	global_load_dwordx4 v[6:9], v[6:7], off offset:3232
	ds_read_b128 v[2:5], v255
	s_movk_i32 s2, 0x4000
	v_add_co_u32_e64 v14, s[2:3], s2, v238
	v_addc_co_u32_e64 v15, s[2:3], 0, v40, s[2:3]
	s_movk_i32 s2, 0x3000
	s_waitcnt vmcnt(0) lgkmcnt(0)
	v_mul_f64 v[10:11], v[4:5], v[8:9]
	v_fma_f64 v[10:11], v[2:3], v[6:7], -v[10:11]
	v_mul_f64 v[2:3], v[2:3], v[8:9]
	v_fma_f64 v[12:13], v[4:5], v[6:7], v[2:3]
	global_load_dwordx4 v[6:9], v[0:1], off offset:3808
	ds_read_b128 v[2:5], v255 offset:3808
	ds_write_b128 v255, v[10:13]
	s_waitcnt vmcnt(0) lgkmcnt(1)
	v_mul_f64 v[10:11], v[4:5], v[8:9]
	v_fma_f64 v[10:11], v[2:3], v[6:7], -v[10:11]
	v_mul_f64 v[2:3], v[2:3], v[8:9]
	v_fma_f64 v[12:13], v[4:5], v[6:7], v[2:3]
	global_load_dwordx4 v[6:9], v[14:15], off offset:2656
	ds_read_b128 v[2:5], v255 offset:7616
	ds_write_b128 v255, v[10:13] offset:3808
	s_waitcnt vmcnt(0) lgkmcnt(1)
	v_mul_f64 v[10:11], v[4:5], v[8:9]
	v_fma_f64 v[10:11], v[2:3], v[6:7], -v[10:11]
	v_mul_f64 v[2:3], v[2:3], v[8:9]
	v_fma_f64 v[12:13], v[4:5], v[6:7], v[2:3]
	global_load_dwordx4 v[6:9], v[0:1], off offset:816
	ds_read_b128 v[2:5], v255 offset:816
	ds_write_b128 v255, v[10:13] offset:7616
	s_waitcnt vmcnt(0) lgkmcnt(1)
	v_mul_f64 v[10:11], v[4:5], v[8:9]
	v_fma_f64 v[10:11], v[2:3], v[6:7], -v[10:11]
	v_mul_f64 v[2:3], v[2:3], v[8:9]
	v_fma_f64 v[12:13], v[4:5], v[6:7], v[2:3]
	v_add_co_u32_e64 v6, s[2:3], s2, v238
	v_addc_co_u32_e64 v7, s[2:3], 0, v40, s[2:3]
	global_load_dwordx4 v[6:9], v[6:7], off offset:3760
	ds_read_b128 v[2:5], v255 offset:4624
	s_movk_i32 s2, 0x5000
	ds_write_b128 v255, v[10:13] offset:816
	v_add_co_u32_e64 v16, s[2:3], s2, v238
	v_addc_co_u32_e64 v17, s[2:3], 0, v40, s[2:3]
	s_waitcnt vmcnt(0) lgkmcnt(1)
	v_mul_f64 v[10:11], v[4:5], v[8:9]
	v_fma_f64 v[10:11], v[2:3], v[6:7], -v[10:11]
	v_mul_f64 v[2:3], v[2:3], v[8:9]
	v_fma_f64 v[12:13], v[4:5], v[6:7], v[2:3]
	global_load_dwordx4 v[6:9], v[14:15], off offset:3472
	ds_read_b128 v[2:5], v255 offset:8432
	ds_write_b128 v255, v[10:13] offset:4624
	s_waitcnt vmcnt(0) lgkmcnt(1)
	v_mul_f64 v[10:11], v[4:5], v[8:9]
	v_fma_f64 v[10:11], v[2:3], v[6:7], -v[10:11]
	v_mul_f64 v[2:3], v[2:3], v[8:9]
	v_fma_f64 v[12:13], v[4:5], v[6:7], v[2:3]
	global_load_dwordx4 v[6:9], v[0:1], off offset:1632
	ds_read_b128 v[2:5], v255 offset:1632
	ds_write_b128 v255, v[10:13] offset:8432
	;; [unrolled: 8-line block ×7, first 2 shown]
	s_waitcnt vmcnt(0) lgkmcnt(1)
	v_mul_f64 v[10:11], v[4:5], v[8:9]
	v_fma_f64 v[10:11], v[2:3], v[6:7], -v[10:11]
	v_mul_f64 v[2:3], v[2:3], v[8:9]
	v_fma_f64 v[12:13], v[4:5], v[6:7], v[2:3]
	ds_write_b128 v255, v[10:13] offset:10064
	s_and_saveexec_b64 s[4:5], vcc
	s_cbranch_execz .LBB0_13
; %bb.12:
	v_add_co_u32_e64 v6, s[2:3], s12, v0
	v_addc_co_u32_e64 v7, s[2:3], 0, v1, s[2:3]
	global_load_dwordx4 v[2:5], v[0:1], off offset:3264
	s_nop 0
	global_load_dwordx4 v[6:9], v[6:7], off offset:2976
	v_add_co_u32_e64 v0, s[2:3], s13, v0
	v_addc_co_u32_e64 v1, s[2:3], 0, v1, s[2:3]
	global_load_dwordx4 v[10:13], v[0:1], off offset:2688
	ds_read_b128 v[14:17], v255 offset:3264
	ds_read_b128 v[18:21], v255 offset:7072
	ds_read_b128 v[22:25], v255 offset:10880
	s_waitcnt vmcnt(2) lgkmcnt(2)
	v_mul_f64 v[0:1], v[16:17], v[4:5]
	v_mul_f64 v[4:5], v[14:15], v[4:5]
	s_waitcnt vmcnt(1) lgkmcnt(1)
	v_mul_f64 v[26:27], v[20:21], v[8:9]
	v_mul_f64 v[8:9], v[18:19], v[8:9]
	;; [unrolled: 3-line block ×3, first 2 shown]
	v_fma_f64 v[0:1], v[14:15], v[2:3], -v[0:1]
	v_fma_f64 v[2:3], v[16:17], v[2:3], v[4:5]
	v_fma_f64 v[4:5], v[18:19], v[6:7], -v[26:27]
	v_fma_f64 v[6:7], v[20:21], v[6:7], v[8:9]
	;; [unrolled: 2-line block ×3, first 2 shown]
	ds_write_b128 v255, v[0:3] offset:3264
	ds_write_b128 v255, v[4:7] offset:7072
	;; [unrolled: 1-line block ×3, first 2 shown]
.LBB0_13:
	s_or_b64 exec, exec, s[4:5]
	s_waitcnt lgkmcnt(0)
	; wave barrier
	s_waitcnt lgkmcnt(0)
	ds_read_b128 v[176:179], v255
	ds_read_b128 v[196:199], v255 offset:816
	ds_read_b128 v[192:195], v255 offset:3808
	;; [unrolled: 1-line block ×11, first 2 shown]
	s_and_saveexec_b64 s[2:3], vcc
	s_cbranch_execz .LBB0_15
; %bb.14:
	ds_read_b128 v[184:187], v255 offset:3264
	ds_read_b128 v[180:183], v255 offset:7072
	;; [unrolled: 1-line block ×3, first 2 shown]
.LBB0_15:
	s_or_b64 exec, exec, s[2:3]
	s_waitcnt lgkmcnt(7)
	v_add_f64 v[0:1], v[192:193], v[188:189]
	v_add_f64 v[2:3], v[176:177], v[192:193]
	v_add_f64 v[4:5], v[194:195], -v[190:191]
	v_add_f64 v[6:7], v[194:195], v[190:191]
	s_waitcnt lgkmcnt(6)
	v_add_f64 v[14:15], v[204:205], v[200:201]
	s_mov_b32 s2, 0xe8584caa
	s_mov_b32 s3, 0xbfebb67a
	;; [unrolled: 1-line block ×3, first 2 shown]
	v_fma_f64 v[0:1], v[0:1], -0.5, v[176:177]
	s_mov_b32 s4, s2
	v_add_f64 v[8:9], v[178:179], v[194:195]
	v_add_f64 v[10:11], v[192:193], -v[188:189]
	v_add_f64 v[12:13], v[196:197], v[204:205]
	v_fma_f64 v[6:7], v[6:7], -0.5, v[178:179]
	v_add_f64 v[176:177], v[2:3], v[188:189]
	v_fma_f64 v[2:3], v[14:15], -0.5, v[196:197]
	v_fma_f64 v[188:189], v[4:5], s[2:3], v[0:1]
	v_fma_f64 v[192:193], v[4:5], s[4:5], v[0:1]
	v_add_f64 v[0:1], v[206:207], v[202:203]
	v_add_f64 v[4:5], v[206:207], -v[202:203]
	v_add_f64 v[178:179], v[8:9], v[190:191]
	v_fma_f64 v[190:191], v[10:11], s[4:5], v[6:7]
	v_add_f64 v[8:9], v[198:199], v[206:207]
	v_fma_f64 v[194:195], v[10:11], s[2:3], v[6:7]
	v_add_f64 v[196:197], v[12:13], v[200:201]
	v_add_f64 v[10:11], v[204:205], -v[200:201]
	v_fma_f64 v[0:1], v[0:1], -0.5, v[198:199]
	v_fma_f64 v[200:201], v[4:5], s[2:3], v[2:3]
	v_fma_f64 v[204:205], v[4:5], s[4:5], v[2:3]
	s_waitcnt lgkmcnt(1)
	v_add_f64 v[2:3], v[222:223], v[210:211]
	v_add_f64 v[4:5], v[212:213], v[220:221]
	v_add_f64 v[6:7], v[220:221], v[208:209]
	v_add_f64 v[198:199], v[8:9], v[202:203]
	s_waitcnt lgkmcnt(0)
	v_add_f64 v[12:13], v[234:235], v[230:231]
	v_fma_f64 v[202:203], v[10:11], s[4:5], v[0:1]
	v_fma_f64 v[206:207], v[10:11], s[2:3], v[0:1]
	v_add_f64 v[0:1], v[214:215], v[222:223]
	v_fma_f64 v[2:3], v[2:3], -0.5, v[214:215]
	v_add_f64 v[10:11], v[220:221], -v[208:209]
	v_add_f64 v[208:209], v[4:5], v[208:209]
	v_add_f64 v[4:5], v[216:217], v[234:235]
	v_fma_f64 v[6:7], v[6:7], -0.5, v[212:213]
	v_add_f64 v[8:9], v[222:223], -v[210:211]
	v_fma_f64 v[12:13], v[12:13], -0.5, v[216:217]
	v_add_f64 v[14:15], v[236:237], -v[232:233]
	v_add_f64 v[210:211], v[0:1], v[210:211]
	v_fma_f64 v[214:215], v[10:11], s[4:5], v[2:3]
	v_add_f64 v[0:1], v[236:237], v[232:233]
	v_fma_f64 v[222:223], v[10:11], s[2:3], v[2:3]
	v_add_f64 v[228:229], v[4:5], v[230:231]
	v_add_f64 v[2:3], v[180:181], v[160:161]
	;; [unrolled: 1-line block ×3, first 2 shown]
	v_fma_f64 v[212:213], v[8:9], s[2:3], v[6:7]
	v_fma_f64 v[220:221], v[8:9], s[4:5], v[6:7]
	;; [unrolled: 1-line block ×4, first 2 shown]
	v_add_f64 v[6:7], v[218:219], v[236:237]
	v_fma_f64 v[0:1], v[0:1], -0.5, v[218:219]
	v_add_f64 v[8:9], v[234:235], -v[230:231]
	v_add_f64 v[10:11], v[184:185], v[180:181]
	v_fma_f64 v[2:3], v[2:3], -0.5, v[184:185]
	v_add_f64 v[12:13], v[182:183], -v[162:163]
	;; [unrolled: 3-line block ×3, first 2 shown]
	v_add_f64 v[230:231], v[6:7], v[232:233]
	v_fma_f64 v[226:227], v[8:9], s[4:5], v[0:1]
	v_fma_f64 v[218:219], v[8:9], s[2:3], v[0:1]
	v_add_f64 v[184:185], v[10:11], v[160:161]
	v_fma_f64 v[180:181], v[12:13], s[2:3], v[2:3]
	v_fma_f64 v[160:161], v[12:13], s[4:5], v[2:3]
	;; [unrolled: 3-line block ×3, first 2 shown]
	s_waitcnt lgkmcnt(0)
	; wave barrier
	ds_write_b128 v98, v[176:179]
	ds_write_b128 v98, v[188:191] offset:16
	ds_write_b128 v98, v[192:195] offset:32
	ds_write_b128 v99, v[196:199]
	ds_write_b128 v99, v[200:203] offset:16
	ds_write_b128 v99, v[204:207] offset:32
	;; [unrolled: 3-line block ×4, first 2 shown]
	s_and_saveexec_b64 s[2:3], vcc
	s_cbranch_execz .LBB0_17
; %bb.16:
	v_lshlrev_b32_e32 v0, 4, v89
	ds_write_b128 v0, v[184:187]
	ds_write_b128 v0, v[180:183] offset:16
	ds_write_b128 v0, v[160:163] offset:32
.LBB0_17:
	s_or_b64 exec, exec, s[2:3]
	s_waitcnt lgkmcnt(0)
	; wave barrier
	s_waitcnt lgkmcnt(0)
	s_and_saveexec_b64 s[2:3], s[0:1]
	s_cbranch_execz .LBB0_19
; %bb.18:
	ds_read_b128 v[176:179], v255
	ds_read_b128 v[188:191], v255 offset:672
	ds_read_b128 v[192:195], v255 offset:1344
	;; [unrolled: 1-line block ×15, first 2 shown]
	s_waitcnt lgkmcnt(0)
	buffer_store_dword v0, off, s[68:71], 0 offset:16 ; 4-byte Folded Spill
	s_nop 0
	buffer_store_dword v1, off, s[68:71], 0 offset:20 ; 4-byte Folded Spill
	buffer_store_dword v2, off, s[68:71], 0 offset:24 ; 4-byte Folded Spill
	;; [unrolled: 1-line block ×3, first 2 shown]
	ds_read_b128 v[0:3], v255 offset:10752
	s_waitcnt lgkmcnt(0)
	buffer_store_dword v0, off, s[68:71], 0 ; 4-byte Folded Spill
	s_nop 0
	buffer_store_dword v1, off, s[68:71], 0 offset:4 ; 4-byte Folded Spill
	buffer_store_dword v2, off, s[68:71], 0 offset:8 ; 4-byte Folded Spill
	;; [unrolled: 1-line block ×3, first 2 shown]
.LBB0_19:
	s_or_b64 exec, exec, s[2:3]
	s_waitcnt lgkmcnt(0)
	; wave barrier
	s_and_saveexec_b64 s[2:3], s[0:1]
	s_cbranch_execz .LBB0_21
; %bb.20:
	buffer_load_dword v18, off, s[68:71], 0 offset:320 ; 4-byte Folded Reload
	buffer_load_dword v19, off, s[68:71], 0 offset:324 ; 4-byte Folded Reload
	;; [unrolled: 1-line block ×12, first 2 shown]
	v_mul_f64 v[0:1], v[110:111], v[222:223]
	v_mul_f64 v[2:3], v[74:75], v[230:231]
	;; [unrolled: 1-line block ×4, first 2 shown]
	s_mov_b32 s14, 0xacd6c6b4
	s_mov_b32 s15, 0xbfc7851a
	;; [unrolled: 1-line block ×4, first 2 shown]
	v_fma_f64 v[22:23], v[108:109], v[220:221], v[0:1]
	v_fma_f64 v[12:13], v[72:73], v[228:229], v[2:3]
	v_fma_f64 v[26:27], v[108:109], v[222:223], -v[4:5]
	v_fma_f64 v[24:25], v[72:73], v[230:231], -v[6:7]
	v_mul_f64 v[2:3], v[82:83], v[218:219]
	s_mov_b32 s37, 0x3fd71e95
	s_mov_b32 s1, 0xbfef7484
	;; [unrolled: 1-line block ×3, first 2 shown]
	v_mov_b32_e32 v59, v23
	v_mov_b32_e32 v53, v13
	;; [unrolled: 1-line block ×8, first 2 shown]
	buffer_store_dword v58, off, s[68:71], 0 offset:424 ; 4-byte Folded Spill
	s_nop 0
	buffer_store_dword v59, off, s[68:71], 0 offset:428 ; 4-byte Folded Spill
	buffer_store_dword v52, off, s[68:71], 0 offset:416 ; 4-byte Folded Spill
	s_nop 0
	buffer_store_dword v53, off, s[68:71], 0 offset:420 ; 4-byte Folded Spill
	;; [unrolled: 3-line block ×4, first 2 shown]
	v_add_f64 v[230:231], v[22:23], -v[12:13]
	v_add_f64 v[84:85], v[26:27], v[24:25]
	s_mov_b32 s16, 0x370991
	s_mov_b32 s21, 0xbfe0d888
	;; [unrolled: 1-line block ×39, first 2 shown]
	s_waitcnt vmcnt(16)
	v_mul_f64 v[8:9], v[20:21], v[214:215]
	s_waitcnt vmcnt(12)
	v_mul_f64 v[10:11], v[32:33], v[226:227]
	;; [unrolled: 2-line block ×3, first 2 shown]
	v_mul_f64 v[4:5], v[20:21], v[212:213]
	v_mul_f64 v[6:7], v[32:33], v[224:225]
	v_fma_f64 v[20:21], v[80:81], v[216:217], v[2:3]
	v_fma_f64 v[28:29], v[18:19], v[212:213], v[8:9]
	;; [unrolled: 1-line block ×4, first 2 shown]
	v_fma_f64 v[38:39], v[18:19], v[214:215], -v[4:5]
	v_mul_f64 v[4:5], v[82:83], v[216:217]
	v_mov_b32_e32 v61, v21
	v_mov_b32_e32 v60, v20
	v_mul_f64 v[8:9], v[16:17], v[208:209]
	v_mov_b32_e32 v63, v29
	v_mov_b32_e32 v57, v11
	;; [unrolled: 1-line block ×4, first 2 shown]
	buffer_store_dword v62, off, s[68:71], 0 offset:432 ; 4-byte Folded Spill
	s_nop 0
	buffer_store_dword v63, off, s[68:71], 0 offset:436 ; 4-byte Folded Spill
	buffer_store_dword v56, off, s[68:71], 0 offset:408 ; 4-byte Folded Spill
	s_nop 0
	buffer_store_dword v57, off, s[68:71], 0 offset:412 ; 4-byte Folded Spill
	v_add_f64 v[224:225], v[28:29], -v[10:11]
	buffer_load_dword v10, off, s[68:71], 0 offset:288 ; 4-byte Folded Reload
	buffer_load_dword v11, off, s[68:71], 0 offset:292 ; 4-byte Folded Reload
	;; [unrolled: 1-line block ×8, first 2 shown]
	v_mov_b32_e32 v65, v23
	v_mov_b32_e32 v64, v22
	buffer_store_dword v64, off, s[68:71], 0 offset:440 ; 4-byte Folded Spill
	s_nop 0
	buffer_store_dword v65, off, s[68:71], 0 offset:444 ; 4-byte Folded Spill
	buffer_store_dword v60, off, s[68:71], 0 offset:400 ; 4-byte Folded Spill
	s_nop 0
	buffer_store_dword v61, off, s[68:71], 0 offset:404 ; 4-byte Folded Spill
	v_add_f64 v[216:217], v[22:23], -v[20:21]
	buffer_load_dword v22, off, s[68:71], 0 offset:272 ; 4-byte Folded Reload
	buffer_load_dword v23, off, s[68:71], 0 offset:276 ; 4-byte Folded Reload
	;; [unrolled: 1-line block ×4, first 2 shown]
	v_fma_f64 v[32:33], v[30:31], v[226:227], -v[6:7]
	v_fma_f64 v[44:45], v[14:15], v[210:211], -v[8:9]
	buffer_load_dword v18, off, s[68:71], 0 offset:256 ; 4-byte Folded Reload
	buffer_load_dword v19, off, s[68:71], 0 offset:260 ; 4-byte Folded Reload
	;; [unrolled: 1-line block ×4, first 2 shown]
	v_fma_f64 v[40:41], v[80:81], v[218:219], -v[4:5]
	v_mul_f64 v[8:9], v[78:79], v[162:163]
	v_add_f64 v[242:243], v[36:37], -v[34:35]
	v_mul_f64 v[16:17], v[230:231], s[46:47]
	v_add_f64 v[251:252], v[58:59], v[52:53]
	v_fma_f64 v[8:9], v[76:77], v[160:161], v[8:9]
	v_mul_f64 v[108:109], v[242:243], s[44:45]
	v_mov_b32_e32 v67, v9
	v_mov_b32_e32 v66, v8
	v_add_f64 v[253:254], v[62:63], v[56:57]
	s_waitcnt vmcnt(16)
	v_mul_f64 v[0:1], v[12:13], v[206:207]
	s_waitcnt vmcnt(12)
	v_mul_f64 v[2:3], v[28:29], v[186:187]
	v_mul_f64 v[4:5], v[28:29], v[184:185]
	s_waitcnt vmcnt(4)
	v_mul_f64 v[6:7], v[24:25], v[202:203]
	v_fma_f64 v[30:31], v[10:11], v[204:205], v[0:1]
	v_mul_f64 v[0:1], v[92:93], v[182:183]
	v_fma_f64 v[14:15], v[26:27], v[184:185], v[2:3]
	v_mul_f64 v[2:3], v[12:13], v[204:205]
	v_fma_f64 v[214:215], v[26:27], v[186:187], -v[4:5]
	v_mov_b32_e32 v187, v139
	v_mov_b32_e32 v186, v138
	v_fma_f64 v[228:229], v[22:23], v[200:201], v[6:7]
	v_mov_b32_e32 v69, v31
	v_fma_f64 v[12:13], v[90:91], v[180:181], v[0:1]
	v_mov_b32_e32 v47, v15
	v_mov_b32_e32 v68, v30
	;; [unrolled: 1-line block ×3, first 2 shown]
	buffer_store_dword v68, off, s[68:71], 0 offset:448 ; 4-byte Folded Spill
	s_nop 0
	buffer_store_dword v69, off, s[68:71], 0 offset:452 ; 4-byte Folded Spill
	buffer_store_dword v46, off, s[68:71], 0 offset:384 ; 4-byte Folded Spill
	s_nop 0
	buffer_store_dword v47, off, s[68:71], 0 offset:388 ; 4-byte Folded Spill
	v_fma_f64 v[210:211], v[10:11], v[206:207], -v[2:3]
	v_mul_f64 v[0:1], v[24:25], v[200:201]
	v_mov_b32_e32 v43, v13
	v_mov_b32_e32 v42, v12
	buffer_store_dword v42, off, s[68:71], 0 offset:368 ; 4-byte Folded Spill
	s_nop 0
	buffer_store_dword v43, off, s[68:71], 0 offset:372 ; 4-byte Folded Spill
	v_add_f64 v[200:201], v[228:229], -v[12:13]
	buffer_load_dword v10, off, s[68:71], 0 offset:240 ; 4-byte Folded Reload
	buffer_load_dword v11, off, s[68:71], 0 offset:244 ; 4-byte Folded Reload
	;; [unrolled: 1-line block ×4, first 2 shown]
	buffer_load_dword v24, off, s[68:71], 0 ; 4-byte Folded Reload
	buffer_load_dword v25, off, s[68:71], 0 offset:4 ; 4-byte Folded Reload
	buffer_load_dword v26, off, s[68:71], 0 offset:8 ; 4-byte Folded Reload
	;; [unrolled: 1-line block ×3, first 2 shown]
	v_add_f64 v[232:233], v[30:31], -v[14:15]
	buffer_load_dword v28, off, s[68:71], 0 offset:16 ; 4-byte Folded Reload
	buffer_load_dword v29, off, s[68:71], 0 offset:20 ; 4-byte Folded Reload
	;; [unrolled: 1-line block ×4, first 2 shown]
	s_waitcnt vmcnt(18)
	v_mul_f64 v[6:7], v[20:21], v[198:199]
	buffer_store_dword v66, off, s[68:71], 0 offset:288 ; 4-byte Folded Spill
	s_nop 0
	buffer_store_dword v67, off, s[68:71], 0 offset:292 ; 4-byte Folded Spill
	buffer_store_dword v40, off, s[68:71], 0 offset:304 ; 4-byte Folded Spill
	s_nop 0
	buffer_store_dword v41, off, s[68:71], 0 offset:308 ; 4-byte Folded Spill
	buffer_store_dword v44, off, s[68:71], 0 offset:392 ; 4-byte Folded Spill
	s_nop 0
	buffer_store_dword v45, off, s[68:71], 0 offset:396 ; 4-byte Folded Spill
	v_fma_f64 v[202:203], v[22:23], v[202:203], -v[0:1]
	v_mul_f64 v[0:1], v[96:97], v[194:195]
	v_mul_f64 v[2:3], v[92:93], v[180:181]
	v_mov_b32_e32 v207, v143
	v_mov_b32_e32 v206, v142
	v_fma_f64 v[146:147], v[18:19], v[196:197], v[6:7]
	v_mov_b32_e32 v205, v141
	v_mov_b32_e32 v204, v140
	;; [unrolled: 1-line block ×3, first 2 shown]
	v_fma_f64 v[236:237], v[94:95], v[192:193], v[0:1]
	v_mul_f64 v[0:1], v[96:97], v[192:193]
	v_fma_f64 v[208:209], v[90:91], v[182:183], -v[2:3]
	v_mov_b32_e32 v184, v136
	v_add_f64 v[234:235], v[146:147], -v[8:9]
	v_mul_f64 v[8:9], v[20:21], v[196:197]
	v_mul_f64 v[20:21], v[200:201], s[44:45]
	;; [unrolled: 1-line block ×3, first 2 shown]
	v_add_f64 v[136:137], v[210:211], v[214:215]
	v_mul_f64 v[110:111], v[232:233], s[44:45]
	v_add_f64 v[138:139], v[202:203], v[208:209]
	v_add_f64 v[50:51], v[202:203], -v[208:209]
	v_fma_f64 v[86:87], v[136:137], s[18:19], v[110:111]
	s_waitcnt vmcnt(14)
	v_mul_f64 v[4:5], v[12:13], v[190:191]
	s_waitcnt vmcnt(10)
	v_mul_f64 v[6:7], v[106:107], v[26:27]
	;; [unrolled: 2-line block ×3, first 2 shown]
	v_add_f64 v[245:246], v[146:147], v[66:67]
	v_fma_f64 v[196:197], v[10:11], v[188:189], v[4:5]
	v_mul_f64 v[4:5], v[12:13], v[188:189]
	v_fma_f64 v[212:213], v[104:105], v[24:25], v[6:7]
	v_mul_f64 v[6:7], v[106:107], v[24:25]
	;; [unrolled: 2-line block ×3, first 2 shown]
	v_fma_f64 v[188:189], v[18:19], v[198:199], -v[8:9]
	v_mul_f64 v[18:19], v[234:235], s[20:21]
	v_mul_f64 v[24:25], v[216:217], s[40:41]
	v_fma_f64 v[192:193], v[10:11], v[190:191], -v[4:5]
	v_mov_b32_e32 v10, v32
	v_mov_b32_e32 v11, v33
	buffer_store_dword v10, off, s[68:71], 0 offset:320 ; 4-byte Folded Spill
	s_nop 0
	buffer_store_dword v11, off, s[68:71], 0 offset:324 ; 4-byte Folded Spill
	buffer_store_dword v38, off, s[68:71], 0 offset:376 ; 4-byte Folded Spill
	s_nop 0
	buffer_store_dword v39, off, s[68:71], 0 offset:380 ; 4-byte Folded Spill
	v_add_f64 v[14:15], v[196:197], -v[212:213]
	v_fma_f64 v[226:227], v[104:105], v[26:27], -v[6:7]
	v_mul_f64 v[4:5], v[78:79], v[160:161]
	v_add_f64 v[12:13], v[236:237], -v[218:219]
	v_fma_f64 v[190:191], v[94:95], v[194:195], -v[0:1]
	v_fma_f64 v[106:107], v[100:101], v[30:31], -v[2:3]
	v_add_f64 v[104:105], v[44:45], v[40:41]
	v_add_f64 v[194:195], v[196:197], v[212:213]
	v_mul_f64 v[0:1], v[14:15], s[14:15]
	v_add_f64 v[160:161], v[192:193], v[226:227]
	v_fma_f64 v[102:103], v[76:77], v[162:163], -v[4:5]
	v_mul_f64 v[2:3], v[12:13], s[36:37]
	v_add_f64 v[98:99], v[192:193], -v[226:227]
	v_add_f64 v[140:141], v[190:191], v[106:107]
	v_add_f64 v[198:199], v[190:191], -v[106:107]
	v_add_f64 v[162:163], v[236:237], v[218:219]
	v_mul_f64 v[26:27], v[224:225], s[24:25]
	v_fma_f64 v[4:5], v[160:161], s[0:1], v[0:1]
	v_add_f64 v[142:143], v[188:189], v[102:103]
	v_fma_f64 v[0:1], v[160:161], s[0:1], -v[0:1]
	v_mul_f64 v[28:29], v[98:99], s[14:15]
	v_fma_f64 v[6:7], v[140:141], s[16:17], v[2:3]
	v_add_f64 v[54:55], v[188:189], -v[102:103]
	v_mul_f64 v[34:35], v[198:199], s[36:37]
	v_fma_f64 v[2:3], v[140:141], s[16:17], -v[2:3]
	v_add_f64 v[4:5], v[178:179], v[4:5]
	v_fma_f64 v[8:9], v[142:143], s[4:5], v[18:19]
	v_add_f64 v[0:1], v[178:179], v[0:1]
	v_fma_f64 v[18:19], v[142:143], s[4:5], -v[18:19]
	v_mul_f64 v[56:57], v[198:199], s[40:41]
	v_mul_f64 v[36:37], v[54:55], s[20:21]
	v_mul_f64 v[72:73], v[54:55], s[34:35]
	v_mul_f64 v[76:77], v[50:51], s[20:21]
	v_add_f64 v[4:5], v[6:7], v[4:5]
	v_fma_f64 v[6:7], v[138:139], s[18:19], v[20:21]
	v_add_f64 v[0:1], v[2:3], v[0:1]
	v_fma_f64 v[20:21], v[138:139], s[18:19], -v[20:21]
	v_add_f64 v[2:3], v[68:69], v[46:47]
	v_mul_f64 v[68:69], v[200:201], s[20:21]
	v_fma_f64 v[78:79], v[245:246], s[16:17], -v[72:73]
	v_add_f64 v[4:5], v[8:9], v[4:5]
	v_fma_f64 v[8:9], v[136:137], s[12:13], v[22:23]
	v_add_f64 v[18:19], v[18:19], v[0:1]
	v_fma_f64 v[22:23], v[136:137], s[12:13], -v[22:23]
	v_add_f64 v[0:1], v[64:65], v[60:61]
	v_fma_f64 v[64:65], v[162:163], s[30:31], -v[56:57]
	v_fma_f64 v[56:57], v[162:163], s[30:31], v[56:57]
	v_add_f64 v[4:5], v[6:7], v[4:5]
	v_fma_f64 v[6:7], v[104:105], s[30:31], v[24:25]
	v_add_f64 v[18:19], v[20:21], v[18:19]
	v_fma_f64 v[24:25], v[104:105], s[30:31], -v[24:25]
	v_add_f64 v[4:5], v[8:9], v[4:5]
	v_add_f64 v[8:9], v[44:45], -v[40:41]
	v_fma_f64 v[44:45], v[245:246], s[4:5], -v[36:37]
	v_fma_f64 v[36:37], v[245:246], s[4:5], v[36:37]
	v_add_f64 v[18:19], v[22:23], v[18:19]
	v_add_f64 v[32:33], v[6:7], v[4:5]
	v_fma_f64 v[4:5], v[194:195], s[0:1], -v[28:29]
	v_fma_f64 v[28:29], v[194:195], s[0:1], v[28:29]
	v_mov_b32_e32 v6, v238
	v_add_f64 v[18:19], v[24:25], v[18:19]
	v_mov_b32_e32 v7, v239
	v_mul_f64 v[238:239], v[8:9], s[20:21]
	v_add_f64 v[40:41], v[176:177], v[4:5]
	v_add_f64 v[28:29], v[176:177], v[28:29]
	v_add_f64 v[4:5], v[228:229], v[42:43]
	v_mul_f64 v[42:43], v[50:51], s[44:45]
	v_add_f64 v[100:101], v[38:39], v[10:11]
	v_add_f64 v[48:49], v[38:39], -v[10:11]
	v_fma_f64 v[38:39], v[162:163], s[16:17], -v[34:35]
	v_fma_f64 v[34:35], v[162:163], s[16:17], v[34:35]
	v_add_f64 v[10:11], v[210:211], -v[214:215]
	v_fma_f64 v[82:83], v[0:1], s[4:5], -v[238:239]
	v_fma_f64 v[20:21], v[4:5], s[18:19], v[42:43]
	v_fma_f64 v[46:47], v[4:5], s[18:19], -v[42:43]
	v_fma_f64 v[30:31], v[100:101], s[26:27], v[26:27]
	v_add_f64 v[38:39], v[38:39], v[40:41]
	v_add_f64 v[28:29], v[34:35], v[28:29]
	v_mul_f64 v[40:41], v[10:11], s[22:23]
	v_mul_f64 v[34:35], v[8:9], s[40:41]
	v_fma_f64 v[26:27], v[100:101], s[26:27], -v[26:27]
	v_add_f64 v[30:31], v[30:31], v[32:33]
	v_add_f64 v[38:39], v[44:45], v[38:39]
	;; [unrolled: 1-line block ×3, first 2 shown]
	v_fma_f64 v[22:23], v[2:3], s[12:13], v[40:41]
	v_fma_f64 v[44:45], v[2:3], s[12:13], -v[40:41]
	v_mul_f64 v[36:37], v[48:49], s[24:25]
	v_fma_f64 v[24:25], v[0:1], s[30:31], v[34:35]
	v_fma_f64 v[42:43], v[0:1], s[30:31], -v[34:35]
	v_add_f64 v[18:19], v[26:27], v[18:19]
	v_add_f64 v[38:39], v[46:47], v[38:39]
	v_add_f64 v[20:21], v[20:21], v[28:29]
	v_mul_f64 v[28:29], v[242:243], s[46:47]
	v_fma_f64 v[26:27], v[253:254], s[26:27], v[36:37]
	v_fma_f64 v[40:41], v[253:254], s[26:27], -v[36:37]
	v_mul_f64 v[36:37], v[12:13], s[40:41]
	v_add_f64 v[38:39], v[44:45], v[38:39]
	v_add_f64 v[20:21], v[22:23], v[20:21]
	v_fma_f64 v[22:23], v[84:85], s[28:29], v[16:17]
	v_fma_f64 v[16:17], v[84:85], s[28:29], -v[16:17]
	v_mul_f64 v[44:45], v[234:235], s[38:39]
	v_fma_f64 v[32:33], v[251:252], s[28:29], -v[28:29]
	v_fma_f64 v[46:47], v[140:141], s[30:31], v[36:37]
	v_fma_f64 v[36:37], v[140:141], s[30:31], -v[36:37]
	v_add_f64 v[38:39], v[42:43], v[38:39]
	v_add_f64 v[20:21], v[24:25], v[20:21]
	v_mul_f64 v[42:43], v[98:99], s[20:21]
	v_add_f64 v[182:183], v[16:17], v[18:19]
	v_fma_f64 v[62:63], v[142:143], s[28:29], v[44:45]
	v_add_f64 v[222:223], v[22:23], v[30:31]
	v_mul_f64 v[30:31], v[216:217], s[14:15]
	v_mul_f64 v[22:23], v[224:225], s[44:45]
	v_add_f64 v[34:35], v[40:41], v[38:39]
	v_add_f64 v[18:19], v[26:27], v[20:21]
	v_mul_f64 v[26:27], v[14:15], s[20:21]
	v_mul_f64 v[40:41], v[200:201], s[52:53]
	v_fma_f64 v[58:59], v[194:195], s[4:5], -v[42:43]
	v_fma_f64 v[42:43], v[194:195], s[4:5], v[42:43]
	v_fma_f64 v[44:45], v[142:143], s[28:29], -v[44:45]
	v_mul_f64 v[24:25], v[230:231], s[24:25]
	v_add_f64 v[220:221], v[32:33], v[34:35]
	v_mul_f64 v[34:35], v[232:233], s[34:35]
	v_fma_f64 v[38:39], v[160:161], s[4:5], v[26:27]
	v_fma_f64 v[60:61], v[138:139], s[12:13], v[40:41]
	v_fma_f64 v[26:27], v[160:161], s[4:5], -v[26:27]
	v_add_f64 v[58:59], v[176:177], v[58:59]
	v_add_f64 v[42:43], v[176:177], v[42:43]
	v_fma_f64 v[32:33], v[104:105], s[0:1], v[30:31]
	v_fma_f64 v[16:17], v[251:252], s[28:29], v[28:29]
	;; [unrolled: 1-line block ×3, first 2 shown]
	v_add_f64 v[38:39], v[178:179], v[38:39]
	v_fma_f64 v[28:29], v[100:101], s[18:19], v[22:23]
	v_add_f64 v[26:27], v[178:179], v[26:27]
	v_add_f64 v[58:59], v[64:65], v[58:59]
	;; [unrolled: 1-line block ×3, first 2 shown]
	v_fma_f64 v[40:41], v[138:139], s[12:13], -v[40:41]
	v_fma_f64 v[20:21], v[84:85], s[26:27], v[24:25]
	v_fma_f64 v[34:35], v[136:137], s[16:17], -v[34:35]
	v_add_f64 v[38:39], v[46:47], v[38:39]
	v_mul_f64 v[46:47], v[54:55], s[38:39]
	v_add_f64 v[26:27], v[36:37], v[26:27]
	v_fma_f64 v[30:31], v[104:105], s[0:1], -v[30:31]
	v_add_f64 v[180:181], v[16:17], v[18:19]
	v_fma_f64 v[22:23], v[100:101], s[18:19], -v[22:23]
	v_add_f64 v[38:39], v[62:63], v[38:39]
	v_mul_f64 v[62:63], v[50:51], s[52:53]
	v_fma_f64 v[66:67], v[245:246], s[28:29], -v[46:47]
	v_fma_f64 v[36:37], v[245:246], s[28:29], v[46:47]
	v_mul_f64 v[46:47], v[10:11], s[34:35]
	v_add_f64 v[26:27], v[44:45], v[26:27]
	v_add_f64 v[38:39], v[60:61], v[38:39]
	v_fma_f64 v[56:57], v[4:5], s[12:13], -v[62:63]
	v_add_f64 v[58:59], v[66:67], v[58:59]
	v_fma_f64 v[44:45], v[4:5], s[12:13], v[62:63]
	v_add_f64 v[36:37], v[36:37], v[42:43]
	v_mul_f64 v[42:43], v[8:9], s[14:15]
	v_add_f64 v[26:27], v[40:41], v[26:27]
	v_fma_f64 v[40:41], v[2:3], s[16:17], v[46:47]
	v_add_f64 v[38:39], v[52:53], v[38:39]
	v_fma_f64 v[52:53], v[2:3], s[16:17], -v[46:47]
	v_add_f64 v[56:57], v[56:57], v[58:59]
	v_mul_f64 v[62:63], v[198:199], s[50:51]
	v_add_f64 v[36:37], v[44:45], v[36:37]
	v_fma_f64 v[44:45], v[0:1], s[0:1], -v[42:43]
	v_add_f64 v[26:27], v[34:35], v[26:27]
	v_fma_f64 v[34:35], v[0:1], s[0:1], v[42:43]
	v_add_f64 v[32:33], v[32:33], v[38:39]
	v_mul_f64 v[38:39], v[48:49], s[44:45]
	v_add_f64 v[46:47], v[52:53], v[56:57]
	v_mul_f64 v[56:57], v[234:235], s[34:35]
	v_add_f64 v[36:37], v[40:41], v[36:37]
	v_fma_f64 v[74:75], v[162:163], s[26:27], -v[62:63]
	v_add_f64 v[26:27], v[30:31], v[26:27]
	v_fma_f64 v[62:63], v[162:163], s[26:27], v[62:63]
	v_add_f64 v[28:29], v[28:29], v[32:33]
	v_mul_f64 v[32:33], v[242:243], s[24:25]
	v_fma_f64 v[40:41], v[253:254], s[18:19], -v[38:39]
	v_add_f64 v[42:43], v[44:45], v[46:47]
	v_fma_f64 v[30:31], v[253:254], s[18:19], v[38:39]
	v_mul_f64 v[38:39], v[98:99], s[22:23]
	v_fma_f64 v[70:71], v[142:143], s[16:17], v[56:57]
	v_fma_f64 v[56:57], v[142:143], s[16:17], -v[56:57]
	v_add_f64 v[58:59], v[20:21], v[28:29]
	v_fma_f64 v[16:17], v[251:252], s[26:27], -v[32:33]
	v_fma_f64 v[20:21], v[84:85], s[26:27], -v[24:25]
	v_fma_f64 v[24:25], v[251:252], s[26:27], v[32:33]
	v_mul_f64 v[32:33], v[14:15], s[22:23]
	v_add_f64 v[18:19], v[40:41], v[42:43]
	v_mul_f64 v[40:41], v[12:13], s[50:51]
	v_fma_f64 v[64:65], v[194:195], s[12:13], -v[38:39]
	v_add_f64 v[34:35], v[34:35], v[36:37]
	v_mul_f64 v[36:37], v[232:233], s[46:47]
	v_fma_f64 v[38:39], v[194:195], s[12:13], v[38:39]
	v_add_f64 v[22:23], v[22:23], v[26:27]
	v_fma_f64 v[44:45], v[160:161], s[12:13], v[32:33]
	v_fma_f64 v[32:33], v[160:161], s[12:13], -v[32:33]
	v_fma_f64 v[66:67], v[140:141], s[26:27], v[40:41]
	v_fma_f64 v[40:41], v[140:141], s[26:27], -v[40:41]
	v_add_f64 v[64:65], v[176:177], v[64:65]
	v_add_f64 v[26:27], v[30:31], v[34:35]
	v_mul_f64 v[34:35], v[216:217], s[42:43]
	v_fma_f64 v[60:61], v[136:137], s[28:29], v[36:37]
	v_add_f64 v[44:45], v[178:179], v[44:45]
	v_add_f64 v[32:33], v[178:179], v[32:33]
	;; [unrolled: 1-line block ×3, first 2 shown]
	v_fma_f64 v[36:37], v[136:137], s[28:29], -v[36:37]
	v_add_f64 v[64:65], v[74:75], v[64:65]
	v_mul_f64 v[30:31], v[224:225], s[14:15]
	v_fma_f64 v[46:47], v[104:105], s[18:19], v[34:35]
	v_fma_f64 v[34:35], v[104:105], s[18:19], -v[34:35]
	v_add_f64 v[44:45], v[66:67], v[44:45]
	v_add_f64 v[32:33], v[40:41], v[32:33]
	v_fma_f64 v[66:67], v[138:139], s[4:5], v[68:69]
	v_fma_f64 v[68:69], v[138:139], s[4:5], -v[68:69]
	v_add_f64 v[64:65], v[78:79], v[64:65]
	v_add_f64 v[38:39], v[62:63], v[38:39]
	v_mul_f64 v[28:29], v[230:231], s[40:41]
	v_fma_f64 v[42:43], v[100:101], s[0:1], v[30:31]
	v_add_f64 v[40:41], v[70:71], v[44:45]
	v_add_f64 v[32:33], v[56:57], v[32:33]
	v_mul_f64 v[44:45], v[10:11], s[46:47]
	v_fma_f64 v[70:71], v[4:5], s[4:5], -v[76:77]
	v_mul_f64 v[56:57], v[8:9], s[42:43]
	v_fma_f64 v[30:31], v[100:101], s[0:1], -v[30:31]
	v_mov_b32_e32 v52, v240
	v_add_f64 v[40:41], v[66:67], v[40:41]
	v_add_f64 v[32:33], v[68:69], v[32:33]
	v_fma_f64 v[66:67], v[245:246], s[16:17], v[72:73]
	v_fma_f64 v[62:63], v[2:3], s[28:29], -v[44:45]
	v_add_f64 v[64:65], v[70:71], v[64:65]
	v_fma_f64 v[68:69], v[4:5], s[4:5], v[76:77]
	v_fma_f64 v[44:45], v[2:3], s[28:29], v[44:45]
	v_add_f64 v[40:41], v[60:61], v[40:41]
	v_add_f64 v[32:33], v[36:37], v[32:33]
	v_mul_f64 v[60:61], v[48:49], s[14:15]
	v_add_f64 v[38:39], v[66:67], v[38:39]
	v_fma_f64 v[66:67], v[0:1], s[18:19], -v[56:57]
	v_add_f64 v[62:63], v[62:63], v[64:65]
	v_add_f64 v[64:65], v[24:25], v[26:27]
	v_mul_f64 v[24:25], v[14:15], s[24:25]
	v_add_f64 v[36:37], v[46:47], v[40:41]
	v_add_f64 v[32:33], v[34:35], v[32:33]
	v_mul_f64 v[40:41], v[242:243], s[40:41]
	v_add_f64 v[38:39], v[68:69], v[38:39]
	v_fma_f64 v[46:47], v[253:254], s[0:1], -v[60:61]
	v_add_f64 v[62:63], v[66:67], v[62:63]
	v_fma_f64 v[34:35], v[84:85], s[30:31], v[28:29]
	v_fma_f64 v[28:29], v[84:85], s[30:31], -v[28:29]
	v_add_f64 v[36:37], v[42:43], v[36:37]
	v_add_f64 v[30:31], v[30:31], v[32:33]
	v_mul_f64 v[26:27], v[98:99], s[24:25]
	v_fma_f64 v[42:43], v[0:1], s[18:19], v[56:57]
	v_add_f64 v[38:39], v[44:45], v[38:39]
	v_fma_f64 v[44:45], v[251:252], s[30:31], -v[40:41]
	v_add_f64 v[46:47], v[46:47], v[62:63]
	v_fma_f64 v[32:33], v[160:161], s[26:27], v[24:25]
	v_add_f64 v[62:63], v[34:35], v[36:37]
	v_add_f64 v[70:71], v[28:29], v[30:31]
	v_mul_f64 v[28:29], v[12:13], s[54:55]
	v_mul_f64 v[34:35], v[198:199], s[54:55]
	v_fma_f64 v[36:37], v[194:195], s[26:27], -v[26:27]
	v_fma_f64 v[24:25], v[160:161], s[26:27], -v[24:25]
	v_add_f64 v[56:57], v[16:17], v[18:19]
	v_add_f64 v[66:67], v[20:21], v[22:23]
	v_fma_f64 v[16:17], v[253:254], s[0:1], v[60:61]
	v_add_f64 v[18:19], v[42:43], v[38:39]
	v_add_f64 v[60:61], v[44:45], v[46:47]
	v_fma_f64 v[20:21], v[251:252], s[30:31], v[40:41]
	v_mul_f64 v[38:39], v[234:235], s[44:45]
	v_fma_f64 v[40:41], v[140:141], s[4:5], v[28:29]
	v_add_f64 v[32:33], v[178:179], v[32:33]
	v_mul_f64 v[42:43], v[54:55], s[44:45]
	v_fma_f64 v[44:45], v[162:163], s[4:5], -v[34:35]
	v_add_f64 v[36:37], v[176:177], v[36:37]
	v_fma_f64 v[28:29], v[140:141], s[4:5], -v[28:29]
	v_add_f64 v[24:25], v[178:179], v[24:25]
	v_mul_f64 v[46:47], v[200:201], s[48:49]
	v_fma_f64 v[68:69], v[142:143], s[18:19], v[38:39]
	v_add_f64 v[32:33], v[40:41], v[32:33]
	v_mul_f64 v[40:41], v[50:51], s[48:49]
	v_fma_f64 v[72:73], v[245:246], s[18:19], -v[42:43]
	v_add_f64 v[36:37], v[44:45], v[36:37]
	v_fma_f64 v[38:39], v[142:143], s[18:19], -v[38:39]
	v_add_f64 v[24:25], v[28:29], v[24:25]
	;; [unrolled: 8-line block ×3, first 2 shown]
	v_mul_f64 v[72:73], v[216:217], s[46:47]
	v_fma_f64 v[76:77], v[136:137], s[0:1], v[44:45]
	v_add_f64 v[28:29], v[74:75], v[28:29]
	v_mul_f64 v[38:39], v[8:9], s[46:47]
	v_fma_f64 v[74:75], v[2:3], s[0:1], -v[32:33]
	v_add_f64 v[36:37], v[68:69], v[36:37]
	v_fma_f64 v[44:45], v[136:137], s[0:1], -v[44:45]
	v_fma_f64 v[26:27], v[194:195], s[26:27], v[26:27]
	v_add_f64 v[24:25], v[46:47], v[24:25]
	v_mul_f64 v[22:23], v[224:225], s[34:35]
	v_fma_f64 v[68:69], v[104:105], s[28:29], v[72:73]
	v_add_f64 v[28:29], v[76:77], v[28:29]
	v_mul_f64 v[46:47], v[48:49], s[34:35]
	v_fma_f64 v[76:77], v[0:1], s[28:29], -v[38:39]
	v_add_f64 v[36:37], v[74:75], v[36:37]
	v_fma_f64 v[72:73], v[104:105], s[28:29], -v[72:73]
	v_fma_f64 v[34:35], v[162:163], s[4:5], v[34:35]
	v_add_f64 v[26:27], v[176:177], v[26:27]
	v_add_f64 v[24:25], v[44:45], v[24:25]
	;; [unrolled: 1-line block ×3, first 2 shown]
	v_mul_f64 v[18:19], v[230:231], s[22:23]
	v_fma_f64 v[30:31], v[100:101], s[16:17], v[22:23]
	v_add_f64 v[28:29], v[68:69], v[28:29]
	v_fma_f64 v[68:69], v[253:254], s[16:17], -v[46:47]
	v_add_f64 v[36:37], v[76:77], v[36:37]
	v_fma_f64 v[22:23], v[100:101], s[16:17], -v[22:23]
	v_fma_f64 v[42:43], v[245:246], s[18:19], v[42:43]
	v_add_f64 v[26:27], v[34:35], v[26:27]
	v_add_f64 v[24:25], v[72:73], v[24:25]
	v_mul_f64 v[44:45], v[242:243], s[22:23]
	v_fma_f64 v[34:35], v[84:85], s[12:13], v[18:19]
	v_add_f64 v[28:29], v[30:31], v[28:29]
	v_add_f64 v[36:37], v[68:69], v[36:37]
	v_fma_f64 v[18:19], v[84:85], s[12:13], -v[18:19]
	v_fma_f64 v[40:41], v[4:5], s[30:31], v[40:41]
	v_add_f64 v[26:27], v[42:43], v[26:27]
	v_add_f64 v[22:23], v[22:23], v[24:25]
	;; [unrolled: 1-line block ×3, first 2 shown]
	v_mul_f64 v[16:17], v[14:15], s[38:39]
	v_fma_f64 v[30:31], v[251:252], s[12:13], -v[44:45]
	v_add_f64 v[74:75], v[34:35], v[28:29]
	v_fma_f64 v[20:21], v[2:3], s[0:1], v[32:33]
	v_mul_f64 v[24:25], v[98:99], s[38:39]
	v_add_f64 v[26:27], v[40:41], v[26:27]
	v_add_f64 v[78:79], v[18:19], v[22:23]
	v_mul_f64 v[22:23], v[12:13], s[14:15]
	v_fma_f64 v[28:29], v[160:161], s[28:29], v[16:17]
	v_add_f64 v[72:73], v[30:31], v[36:37]
	v_fma_f64 v[30:31], v[0:1], s[28:29], v[38:39]
	v_mul_f64 v[32:33], v[198:199], s[14:15]
	v_fma_f64 v[34:35], v[194:195], s[28:29], -v[24:25]
	v_add_f64 v[20:21], v[20:21], v[26:27]
	v_mul_f64 v[36:37], v[234:235], s[50:51]
	v_fma_f64 v[38:39], v[140:141], s[0:1], v[22:23]
	v_add_f64 v[28:29], v[178:179], v[28:29]
	v_fma_f64 v[16:17], v[160:161], s[28:29], -v[16:17]
	v_fma_f64 v[18:19], v[251:252], s[12:13], v[44:45]
	v_mul_f64 v[40:41], v[54:55], s[50:51]
	v_fma_f64 v[42:43], v[162:163], s[0:1], -v[32:33]
	v_add_f64 v[34:35], v[176:177], v[34:35]
	v_add_f64 v[20:21], v[30:31], v[20:21]
	v_mul_f64 v[30:31], v[200:201], s[36:37]
	v_fma_f64 v[44:45], v[142:143], s[26:27], v[36:37]
	v_add_f64 v[28:29], v[38:39], v[28:29]
	v_fma_f64 v[22:23], v[140:141], s[0:1], -v[22:23]
	v_add_f64 v[16:17], v[178:179], v[16:17]
	v_fma_f64 v[26:27], v[253:254], s[16:17], v[46:47]
	v_mul_f64 v[38:39], v[50:51], s[36:37]
	v_fma_f64 v[46:47], v[245:246], s[26:27], -v[40:41]
	v_add_f64 v[34:35], v[42:43], v[34:35]
	v_mul_f64 v[42:43], v[232:233], s[48:49]
	v_fma_f64 v[76:77], v[138:139], s[16:17], v[30:31]
	v_add_f64 v[28:29], v[44:45], v[28:29]
	v_fma_f64 v[36:37], v[142:143], s[26:27], -v[36:37]
	v_add_f64 v[16:17], v[22:23], v[16:17]
	v_mul_f64 v[44:45], v[10:11], s[48:49]
	v_fma_f64 v[80:81], v[4:5], s[16:17], -v[38:39]
	v_add_f64 v[34:35], v[46:47], v[34:35]
	v_mul_f64 v[22:23], v[216:217], s[20:21]
	v_fma_f64 v[46:47], v[136:137], s[30:31], v[42:43]
	v_add_f64 v[28:29], v[76:77], v[28:29]
	v_fma_f64 v[30:31], v[138:139], s[16:17], -v[30:31]
	v_add_f64 v[16:17], v[36:37], v[16:17]
	v_fma_f64 v[76:77], v[2:3], s[30:31], -v[44:45]
	v_mul_f64 v[36:37], v[224:225], s[52:53]
	v_add_f64 v[34:35], v[80:81], v[34:35]
	v_fma_f64 v[80:81], v[104:105], s[4:5], v[22:23]
	v_fma_f64 v[42:43], v[136:137], s[30:31], -v[42:43]
	v_add_f64 v[28:29], v[46:47], v[28:29]
	v_mul_f64 v[46:47], v[48:49], s[52:53]
	v_add_f64 v[16:17], v[30:31], v[16:17]
	v_mul_f64 v[30:31], v[230:231], s[44:45]
	v_fma_f64 v[22:23], v[104:105], s[4:5], -v[22:23]
	v_add_f64 v[34:35], v[76:77], v[34:35]
	v_fma_f64 v[76:77], v[100:101], s[12:13], v[36:37]
	v_add_f64 v[20:21], v[26:27], v[20:21]
	v_add_f64 v[28:29], v[80:81], v[28:29]
	v_fma_f64 v[24:25], v[194:195], s[28:29], v[24:25]
	v_add_f64 v[16:17], v[42:43], v[16:17]
	v_fma_f64 v[80:81], v[253:254], s[12:13], -v[46:47]
	v_fma_f64 v[26:27], v[84:85], s[18:19], v[30:31]
	v_add_f64 v[34:35], v[82:83], v[34:35]
	v_fma_f64 v[42:43], v[251:252], s[18:19], -v[108:109]
	v_fma_f64 v[36:37], v[100:101], s[12:13], -v[36:37]
	v_add_f64 v[28:29], v[76:77], v[28:29]
	v_add_f64 v[76:77], v[18:19], v[20:21]
	;; [unrolled: 1-line block ×3, first 2 shown]
	v_fma_f64 v[18:19], v[162:163], s[0:1], v[32:33]
	v_mul_f64 v[20:21], v[14:15], s[48:49]
	v_add_f64 v[22:23], v[176:177], v[24:25]
	v_add_f64 v[34:35], v[80:81], v[34:35]
	v_fma_f64 v[24:25], v[84:85], s[18:19], -v[30:31]
	v_add_f64 v[82:83], v[26:27], v[28:29]
	v_fma_f64 v[26:27], v[245:246], s[26:27], v[40:41]
	v_mul_f64 v[28:29], v[12:13], s[22:23]
	v_mul_f64 v[32:33], v[98:99], s[48:49]
	v_fma_f64 v[30:31], v[160:161], s[30:31], v[20:21]
	v_add_f64 v[18:19], v[18:19], v[22:23]
	s_mov_b32 s47, 0x3fc7851a
	s_mov_b32 s46, s14
	v_add_f64 v[80:81], v[42:43], v[34:35]
	v_add_f64 v[16:17], v[36:37], v[16:17]
	v_fma_f64 v[22:23], v[4:5], s[16:17], v[38:39]
	v_mul_f64 v[34:35], v[234:235], s[46:47]
	v_fma_f64 v[36:37], v[140:141], s[12:13], v[28:29]
	v_add_f64 v[30:31], v[178:179], v[30:31]
	v_add_f64 v[18:19], v[26:27], v[18:19]
	v_mul_f64 v[40:41], v[198:199], s[22:23]
	v_fma_f64 v[42:43], v[194:195], s[30:31], -v[32:33]
	v_fma_f64 v[26:27], v[251:252], s[18:19], v[108:109]
	v_fma_f64 v[38:39], v[2:3], s[30:31], v[44:45]
	v_mul_f64 v[44:45], v[200:201], s[50:51]
	v_fma_f64 v[108:109], v[142:143], s[0:1], v[34:35]
	v_add_f64 v[30:31], v[36:37], v[30:31]
	v_add_f64 v[18:19], v[22:23], v[18:19]
	v_fma_f64 v[22:23], v[0:1], s[4:5], v[238:239]
	v_mul_f64 v[36:37], v[54:55], s[46:47]
	v_fma_f64 v[238:239], v[162:163], s[12:13], -v[40:41]
	v_add_f64 v[42:43], v[176:177], v[42:43]
	v_fma_f64 v[144:145], v[138:139], s[26:27], v[44:45]
	v_fma_f64 v[20:21], v[160:161], s[30:31], -v[20:21]
	v_add_f64 v[30:31], v[108:109], v[30:31]
	v_add_f64 v[18:19], v[38:39], v[18:19]
	v_fma_f64 v[38:39], v[253:254], s[12:13], v[46:47]
	v_mul_f64 v[46:47], v[50:51], s[50:51]
	v_fma_f64 v[108:109], v[245:246], s[0:1], -v[36:37]
	v_add_f64 v[42:43], v[238:239], v[42:43]
	v_mul_f64 v[238:239], v[216:217], s[34:35]
	v_fma_f64 v[28:29], v[140:141], s[12:13], -v[28:29]
	v_add_f64 v[30:31], v[144:145], v[30:31]
	v_add_f64 v[18:19], v[22:23], v[18:19]
	v_mul_f64 v[144:145], v[10:11], s[44:45]
	v_fma_f64 v[22:23], v[4:5], s[26:27], -v[46:47]
	v_add_f64 v[20:21], v[178:179], v[20:21]
	v_add_f64 v[42:43], v[108:109], v[42:43]
	v_fma_f64 v[88:89], v[104:105], s[16:17], v[238:239]
	v_mul_f64 v[108:109], v[224:225], s[38:39]
	v_add_f64 v[30:31], v[86:87], v[30:31]
	v_mul_f64 v[86:87], v[8:9], s[34:35]
	v_fma_f64 v[90:91], v[2:3], s[18:19], -v[144:145]
	v_fma_f64 v[34:35], v[142:143], s[0:1], -v[34:35]
	v_add_f64 v[20:21], v[28:29], v[20:21]
	v_add_f64 v[22:23], v[22:23], v[42:43]
	;; [unrolled: 1-line block ×3, first 2 shown]
	v_mul_f64 v[42:43], v[230:231], s[20:21]
	v_add_f64 v[30:31], v[88:89], v[30:31]
	v_mul_f64 v[88:89], v[48:49], s[38:39]
	v_fma_f64 v[28:29], v[0:1], s[16:17], -v[86:87]
	v_fma_f64 v[92:93], v[100:101], s[28:29], v[108:109]
	v_fma_f64 v[44:45], v[138:139], s[26:27], -v[44:45]
	v_add_f64 v[22:23], v[90:91], v[22:23]
	v_add_f64 v[20:21], v[34:35], v[20:21]
	;; [unrolled: 1-line block ×4, first 2 shown]
	v_fma_f64 v[34:35], v[253:254], s[28:29], -v[88:89]
	v_mul_f64 v[26:27], v[14:15], s[42:43]
	v_fma_f64 v[90:91], v[84:85], s[4:5], v[42:43]
	v_add_f64 v[30:31], v[92:93], v[30:31]
	v_add_f64 v[28:29], v[28:29], v[22:23]
	v_fma_f64 v[24:25], v[136:137], s[18:19], -v[110:111]
	v_add_f64 v[20:21], v[44:45], v[20:21]
	v_fma_f64 v[32:33], v[194:195], s[30:31], v[32:33]
	v_fma_f64 v[38:39], v[104:105], s[16:17], -v[238:239]
	v_fma_f64 v[44:45], v[160:161], s[18:19], v[26:27]
	v_fma_f64 v[40:41], v[162:163], s[12:13], v[40:41]
	v_add_f64 v[22:23], v[90:91], v[30:31]
	v_add_f64 v[28:29], v[34:35], v[28:29]
	v_fma_f64 v[34:35], v[84:85], s[4:5], -v[42:43]
	v_mul_f64 v[42:43], v[12:13], s[38:39]
	v_add_f64 v[20:21], v[24:25], v[20:21]
	v_fma_f64 v[24:25], v[100:101], s[28:29], -v[108:109]
	v_mul_f64 v[90:91], v[98:99], s[42:43]
	v_add_f64 v[32:33], v[176:177], v[32:33]
	v_mul_f64 v[108:109], v[234:235], s[22:23]
	v_add_f64 v[44:45], v[178:179], v[44:45]
	v_fma_f64 v[36:37], v[245:246], s[0:1], v[36:37]
	v_fma_f64 v[110:111], v[140:141], s[28:29], v[42:43]
	v_add_f64 v[20:21], v[38:39], v[20:21]
	v_mul_f64 v[38:39], v[198:199], s[38:39]
	v_fma_f64 v[238:239], v[194:195], s[18:19], -v[90:91]
	v_add_f64 v[32:33], v[40:41], v[32:33]
	v_mul_f64 v[40:41], v[200:201], s[14:15]
	v_fma_f64 v[94:95], v[142:143], s[12:13], v[108:109]
	v_fma_f64 v[46:47], v[4:5], s[26:27], v[46:47]
	v_add_f64 v[44:45], v[110:111], v[44:45]
	v_mul_f64 v[110:111], v[54:55], s[22:23]
	v_fma_f64 v[96:97], v[162:163], s[28:29], -v[38:39]
	v_add_f64 v[238:239], v[176:177], v[238:239]
	v_add_f64 v[32:33], v[36:37], v[32:33]
	v_mul_f64 v[36:37], v[232:233], s[54:55]
	v_fma_f64 v[240:241], v[138:139], s[0:1], v[40:41]
	v_fma_f64 v[86:87], v[0:1], s[16:17], v[86:87]
	v_add_f64 v[44:45], v[94:95], v[44:45]
	v_fma_f64 v[94:95], v[2:3], s[18:19], v[144:145]
	v_mul_f64 v[144:145], v[50:51], s[14:15]
	v_fma_f64 v[247:248], v[245:246], s[12:13], -v[110:111]
	v_add_f64 v[96:97], v[96:97], v[238:239]
	v_add_f64 v[32:33], v[46:47], v[32:33]
	v_mul_f64 v[46:47], v[216:217], s[50:51]
	v_fma_f64 v[238:239], v[136:137], s[4:5], v[36:37]
	v_add_f64 v[44:45], v[240:241], v[44:45]
	v_mul_f64 v[240:241], v[10:11], s[54:55]
	v_fma_f64 v[249:250], v[4:5], s[0:1], -v[144:145]
	v_mul_f64 v[92:93], v[242:243], s[20:21]
	v_add_f64 v[96:97], v[247:248], v[96:97]
	v_add_f64 v[32:33], v[94:95], v[32:33]
	v_mul_f64 v[94:95], v[224:225], s[40:41]
	v_fma_f64 v[247:248], v[104:105], s[26:27], v[46:47]
	v_add_f64 v[44:45], v[238:239], v[44:45]
	v_fma_f64 v[88:89], v[253:254], s[28:29], v[88:89]
	v_mul_f64 v[238:239], v[8:9], s[50:51]
	v_fma_f64 v[148:149], v[2:3], s[4:5], -v[240:241]
	v_add_f64 v[96:97], v[249:250], v[96:97]
	v_add_f64 v[32:33], v[86:87], v[32:33]
	v_fma_f64 v[150:151], v[100:101], s[30:31], v[94:95]
	v_fma_f64 v[30:31], v[251:252], s[4:5], -v[92:93]
	v_add_f64 v[44:45], v[247:248], v[44:45]
	v_mul_f64 v[86:87], v[230:231], s[36:37]
	v_add_f64 v[24:25], v[24:25], v[20:21]
	v_fma_f64 v[20:21], v[0:1], s[26:27], -v[238:239]
	v_add_f64 v[96:97], v[148:149], v[96:97]
	v_fma_f64 v[92:93], v[251:252], s[4:5], v[92:93]
	v_add_f64 v[32:33], v[88:89], v[32:33]
	v_fma_f64 v[40:41], v[138:139], s[0:1], -v[40:41]
	v_add_f64 v[44:45], v[150:151], v[44:45]
	v_fma_f64 v[150:151], v[160:161], s[18:19], -v[26:27]
	v_fma_f64 v[88:89], v[84:85], s[16:17], v[86:87]
	v_add_f64 v[26:27], v[34:35], v[24:25]
	v_add_f64 v[96:97], v[20:21], v[96:97]
	;; [unrolled: 1-line block ×4, first 2 shown]
	v_fma_f64 v[28:29], v[140:141], s[28:29], -v[42:43]
	v_fma_f64 v[36:37], v[136:137], s[4:5], -v[36:37]
	v_add_f64 v[32:33], v[178:179], v[150:151]
	v_add_f64 v[30:31], v[88:89], v[44:45]
	v_fma_f64 v[44:45], v[84:85], s[16:17], -v[86:87]
	v_fma_f64 v[86:87], v[194:195], s[18:19], v[90:91]
	v_fma_f64 v[90:91], v[142:143], s[12:13], -v[108:109]
	v_fma_f64 v[88:89], v[100:101], s[30:31], -v[94:95]
	v_add_f64 v[94:95], v[176:177], v[196:197]
	v_mul_f64 v[247:248], v[48:49], s[40:41]
	v_add_f64 v[28:29], v[28:29], v[32:33]
	v_fma_f64 v[32:33], v[104:105], s[26:27], -v[46:47]
	v_mul_f64 v[14:15], v[14:15], s[34:35]
	v_fma_f64 v[38:39], v[162:163], s[28:29], v[38:39]
	v_add_f64 v[46:47], v[176:177], v[86:87]
	v_mul_f64 v[86:87], v[12:13], s[42:43]
	v_add_f64 v[94:95], v[94:95], v[236:237]
	v_fma_f64 v[249:250], v[253:254], s[30:31], -v[247:248]
	v_add_f64 v[28:29], v[90:91], v[28:29]
	v_add_f64 v[92:93], v[178:179], v[192:193]
	v_fma_f64 v[12:13], v[160:161], s[16:17], v[14:15]
	v_fma_f64 v[90:91], v[245:246], s[12:13], v[110:111]
	v_add_f64 v[38:39], v[38:39], v[46:47]
	v_mul_f64 v[46:47], v[234:235], s[48:49]
	v_add_f64 v[94:95], v[94:95], v[146:147]
	v_add_f64 v[42:43], v[249:250], v[96:97]
	;; [unrolled: 1-line block ×3, first 2 shown]
	v_fma_f64 v[96:97], v[140:141], s[18:19], v[86:87]
	v_add_f64 v[12:13], v[178:179], v[12:13]
	v_add_f64 v[92:93], v[92:93], v[190:191]
	v_fma_f64 v[40:41], v[4:5], s[0:1], v[144:145]
	v_add_f64 v[38:39], v[90:91], v[38:39]
	v_add_f64 v[94:95], v[94:95], v[228:229]
	v_mul_f64 v[90:91], v[200:201], s[38:39]
	v_add_f64 v[28:29], v[36:37], v[28:29]
	v_fma_f64 v[108:109], v[142:143], s[30:31], v[46:47]
	v_add_f64 v[12:13], v[96:97], v[12:13]
	v_add_f64 v[92:93], v[92:93], v[188:189]
	v_fma_f64 v[36:37], v[2:3], s[4:5], v[240:241]
	v_add_f64 v[38:39], v[40:41], v[38:39]
	v_mul_f64 v[40:41], v[232:233], s[24:25]
	v_fma_f64 v[96:97], v[138:139], s[28:29], v[90:91]
	v_add_f64 v[28:29], v[32:33], v[28:29]
	v_fma_f64 v[32:33], v[0:1], s[26:27], v[238:239]
	v_mov_b32_e32 v239, v7
	v_mov_b32_e32 v238, v6
	buffer_load_dword v6, off, s[68:71], 0 offset:448 ; 4-byte Folded Reload
	buffer_load_dword v7, off, s[68:71], 0 offset:452 ; 4-byte Folded Reload
	v_add_f64 v[12:13], v[108:109], v[12:13]
	v_add_f64 v[92:93], v[92:93], v[202:203]
	v_fma_f64 v[108:109], v[136:137], s[26:27], v[40:41]
	v_add_f64 v[28:29], v[88:89], v[28:29]
	v_mov_b32_e32 v240, v52
	v_mul_f64 v[98:99], v[98:99], s[34:35]
	v_fma_f64 v[14:15], v[160:161], s[16:17], -v[14:15]
	v_mul_f64 v[110:111], v[198:199], s[42:43]
	v_add_f64 v[12:13], v[96:97], v[12:13]
	v_add_f64 v[92:93], v[92:93], v[210:211]
	v_fma_f64 v[86:87], v[140:141], s[18:19], -v[86:87]
	v_fma_f64 v[46:47], v[142:143], s[30:31], -v[46:47]
	v_fma_f64 v[90:91], v[138:139], s[28:29], -v[90:91]
	v_fma_f64 v[144:145], v[194:195], s[16:17], v[98:99]
	v_fma_f64 v[98:99], v[194:195], s[16:17], -v[98:99]
	v_add_f64 v[14:15], v[178:179], v[14:15]
	v_add_f64 v[108:109], v[108:109], v[12:13]
	;; [unrolled: 1-line block ×3, first 2 shown]
	v_fma_f64 v[140:141], v[162:163], s[18:19], v[110:111]
	v_fma_f64 v[110:111], v[162:163], s[18:19], -v[110:111]
	v_add_f64 v[36:37], v[36:37], v[38:39]
	v_mul_f64 v[10:11], v[10:11], s[24:25]
	v_add_f64 v[98:99], v[176:177], v[98:99]
	v_add_f64 v[14:15], v[86:87], v[14:15]
	v_fma_f64 v[40:41], v[136:137], s[26:27], -v[40:41]
	v_add_f64 v[144:145], v[176:177], v[144:145]
	v_mul_f64 v[38:39], v[216:217], s[22:23]
	v_mul_f64 v[8:9], v[8:9], s[22:23]
	v_add_f64 v[32:33], v[32:33], v[36:37]
	v_mul_f64 v[36:37], v[224:225], s[20:21]
	v_add_f64 v[98:99], v[110:111], v[98:99]
	v_add_f64 v[14:15], v[46:47], v[14:15]
	v_mul_f64 v[48:49], v[48:49], s[20:21]
	v_add_f64 v[140:141], v[140:141], v[144:145]
	v_fma_f64 v[96:97], v[104:105], s[12:13], v[38:39]
	v_fma_f64 v[88:89], v[253:254], s[30:31], v[247:248]
	v_mul_f64 v[148:149], v[242:243], s[36:37]
	v_mov_b32_e32 v136, v184
	v_mov_b32_e32 v137, v185
	v_add_f64 v[14:15], v[90:91], v[14:15]
	v_mov_b32_e32 v138, v186
	v_mov_b32_e32 v139, v187
	v_add_f64 v[96:97], v[96:97], v[108:109]
	v_mul_f64 v[108:109], v[242:243], s[14:15]
	v_add_f64 v[32:33], v[88:89], v[32:33]
	v_mul_f64 v[88:89], v[230:231], s[14:15]
	v_fma_f64 v[28:29], v[251:252], s[16:17], v[148:149]
	v_fma_f64 v[34:35], v[251:252], s[16:17], -v[148:149]
	s_waitcnt vmcnt(0)
	v_add_f64 v[94:95], v[94:95], v[6:7]
	buffer_load_dword v6, off, s[68:71], 0 offset:392 ; 4-byte Folded Reload
	buffer_load_dword v7, off, s[68:71], 0 offset:396 ; 4-byte Folded Reload
	s_waitcnt vmcnt(0)
	v_add_f64 v[44:45], v[92:93], v[6:7]
	buffer_load_dword v6, off, s[68:71], 0 offset:440 ; 4-byte Folded Reload
	buffer_load_dword v7, off, s[68:71], 0 offset:444 ; 4-byte Folded Reload
	;; [unrolled: 4-line block ×3, first 2 shown]
	v_fma_f64 v[94:95], v[100:101], s[4:5], v[36:37]
	s_waitcnt vmcnt(0)
	v_add_f64 v[44:45], v[44:45], v[6:7]
	buffer_load_dword v6, off, s[68:71], 0 offset:432 ; 4-byte Folded Reload
	buffer_load_dword v7, off, s[68:71], 0 offset:436 ; 4-byte Folded Reload
	s_waitcnt vmcnt(0)
	v_add_f64 v[92:93], v[92:93], v[6:7]
	v_mul_f64 v[6:7], v[50:51], s[38:39]
	buffer_load_dword v50, off, s[68:71], 0 offset:360 ; 4-byte Folded Reload
	buffer_load_dword v51, off, s[68:71], 0 offset:364 ; 4-byte Folded Reload
	v_fma_f64 v[46:47], v[4:5], s[28:29], v[6:7]
	v_fma_f64 v[4:5], v[4:5], s[28:29], -v[6:7]
	s_waitcnt vmcnt(0)
	v_add_f64 v[44:45], v[44:45], v[50:51]
	buffer_load_dword v50, off, s[68:71], 0 offset:424 ; 4-byte Folded Reload
	buffer_load_dword v51, off, s[68:71], 0 offset:428 ; 4-byte Folded Reload
	;; [unrolled: 1-line block ×4, first 2 shown]
	s_waitcnt vmcnt(2)
	v_add_f64 v[92:93], v[92:93], v[50:51]
	s_waitcnt vmcnt(0)
	v_add_f64 v[44:45], v[44:45], v[52:53]
	buffer_load_dword v52, off, s[68:71], 0 offset:416 ; 4-byte Folded Reload
	buffer_load_dword v53, off, s[68:71], 0 offset:420 ; 4-byte Folded Reload
	v_mul_f64 v[50:51], v[54:55], s[48:49]
	v_fma_f64 v[86:87], v[245:246], s[30:31], v[50:51]
	v_fma_f64 v[50:51], v[245:246], s[30:31], -v[50:51]
	v_add_f64 v[86:87], v[86:87], v[140:141]
	v_add_f64 v[6:7], v[50:51], v[98:99]
	v_fma_f64 v[50:51], v[2:3], s[26:27], v[10:11]
	v_fma_f64 v[2:3], v[2:3], s[26:27], -v[10:11]
	v_add_f64 v[10:11], v[40:41], v[14:15]
	v_fma_f64 v[14:15], v[0:1], s[12:13], v[8:9]
	v_fma_f64 v[0:1], v[0:1], s[12:13], -v[8:9]
	v_fma_f64 v[8:9], v[253:254], s[4:5], v[48:49]
	v_add_f64 v[46:47], v[46:47], v[86:87]
	v_add_f64 v[4:5], v[4:5], v[6:7]
	v_fma_f64 v[6:7], v[104:105], s[12:13], -v[38:39]
	v_mov_b32_e32 v140, v204
	v_mov_b32_e32 v141, v205
	;; [unrolled: 1-line block ×4, first 2 shown]
	v_add_f64 v[2:3], v[2:3], v[4:5]
	v_fma_f64 v[4:5], v[100:101], s[4:5], -v[36:37]
	v_add_f64 v[6:7], v[6:7], v[10:11]
	v_add_f64 v[0:1], v[0:1], v[2:3]
	v_fma_f64 v[2:3], v[84:85], s[0:1], -v[88:89]
	v_add_f64 v[4:5], v[4:5], v[6:7]
	v_add_f64 v[2:3], v[2:3], v[4:5]
	s_waitcnt vmcnt(0)
	v_add_f64 v[92:93], v[92:93], v[52:53]
	buffer_load_dword v52, off, s[68:71], 0 offset:320 ; 4-byte Folded Reload
	buffer_load_dword v53, off, s[68:71], 0 offset:324 ; 4-byte Folded Reload
	s_waitcnt vmcnt(0)
	v_add_f64 v[44:45], v[44:45], v[52:53]
	buffer_load_dword v52, off, s[68:71], 0 offset:408 ; 4-byte Folded Reload
	buffer_load_dword v53, off, s[68:71], 0 offset:412 ; 4-byte Folded Reload
	;; [unrolled: 4-line block ×4, first 2 shown]
	v_add_f64 v[44:45], v[44:45], v[214:215]
	v_add_f64 v[38:39], v[44:45], v[208:209]
	;; [unrolled: 1-line block ×5, first 2 shown]
	v_fma_f64 v[38:39], v[253:254], s[4:5], -v[48:49]
	v_fma_f64 v[44:45], v[251:252], s[0:1], -v[108:109]
	v_add_f64 v[6:7], v[10:11], v[106:107]
	v_add_f64 v[8:9], v[8:9], v[14:15]
	v_add_f64 v[38:39], v[38:39], v[0:1]
	v_fma_f64 v[14:15], v[84:85], s[0:1], v[88:89]
	v_add_f64 v[6:7], v[6:7], v[226:227]
	s_waitcnt vmcnt(0)
	v_add_f64 v[92:93], v[92:93], v[52:53]
	buffer_load_dword v52, off, s[68:71], 0 offset:384 ; 4-byte Folded Reload
	buffer_load_dword v53, off, s[68:71], 0 offset:388 ; 4-byte Folded Reload
	;; [unrolled: 1-line block ×6, first 2 shown]
	s_waitcnt vmcnt(4)
	v_add_f64 v[90:91], v[92:93], v[52:53]
	s_waitcnt vmcnt(2)
	v_add_f64 v[40:41], v[90:91], v[40:41]
	s_waitcnt vmcnt(0)
	v_add_f64 v[36:37], v[40:41], v[36:37]
	v_fma_f64 v[40:41], v[251:252], s[0:1], v[108:109]
	v_add_f64 v[10:11], v[36:37], v[218:219]
	v_add_f64 v[0:1], v[40:41], v[8:9]
	buffer_load_dword v8, off, s[68:71], 0 offset:232 ; 4-byte Folded Reload
	buffer_load_dword v9, off, s[68:71], 0 offset:236 ; 4-byte Folded Reload
	v_add_f64 v[36:37], v[94:95], v[96:97]
	v_add_f64 v[4:5], v[10:11], v[212:213]
	;; [unrolled: 1-line block ×6, first 2 shown]
	s_waitcnt vmcnt(1)
	v_mul_u32_u24_e32 v8, 51, v8
	s_waitcnt vmcnt(0)
	v_add_lshl_u32 v8, v8, v9, 4
	ds_write_b128 v8, v[4:7]
	ds_write_b128 v8, v[0:3] offset:48
	ds_write_b128 v8, v[10:13] offset:96
	;; [unrolled: 1-line block ×16, first 2 shown]
.LBB0_21:
	s_or_b64 exec, exec, s[2:3]
	buffer_load_dword v80, off, s[68:71], 0 offset:32 ; 4-byte Folded Reload
	buffer_load_dword v81, off, s[68:71], 0 offset:36 ; 4-byte Folded Reload
	s_waitcnt lgkmcnt(0)
	; wave barrier
	s_waitcnt lgkmcnt(0)
	ds_read_b128 v[2:5], v255
	ds_read_b128 v[6:9], v255 offset:816
	ds_read_b128 v[10:13], v255 offset:1632
	;; [unrolled: 1-line block ×11, first 2 shown]
	s_waitcnt lgkmcnt(9)
	v_mul_f64 v[58:59], v[130:131], v[12:13]
	v_mul_f64 v[60:61], v[130:131], v[10:11]
	s_waitcnt lgkmcnt(7)
	v_mul_f64 v[62:63], v[126:127], v[20:21]
	v_mul_f64 v[64:65], v[126:127], v[18:19]
	;; [unrolled: 3-line block ×3, first 2 shown]
	ds_read_b128 v[50:53], v255 offset:9792
	ds_read_b128 v[54:57], v255 offset:10608
	v_mul_f64 v[70:71], v[130:131], v[16:17]
	v_fma_f64 v[10:11], v[128:129], v[10:11], v[58:59]
	v_fma_f64 v[12:13], v[128:129], v[12:13], -v[60:61]
	v_fma_f64 v[18:19], v[124:125], v[18:19], v[62:63]
	v_fma_f64 v[20:21], v[124:125], v[20:21], -v[64:65]
	;; [unrolled: 2-line block ×3, first 2 shown]
	s_waitcnt lgkmcnt(5)
	v_mul_f64 v[58:59], v[118:119], v[36:37]
	v_mul_f64 v[60:61], v[118:119], v[34:35]
	s_waitcnt lgkmcnt(3)
	v_mul_f64 v[62:63], v[134:135], v[44:45]
	v_mul_f64 v[64:65], v[134:135], v[42:43]
	;; [unrolled: 3-line block ×3, first 2 shown]
	v_mul_f64 v[72:73], v[130:131], v[14:15]
	s_mov_b32 s2, 0x37e14327
	v_fma_f64 v[34:35], v[116:117], v[34:35], v[58:59]
	v_fma_f64 v[36:37], v[116:117], v[36:37], -v[60:61]
	v_fma_f64 v[42:43], v[132:133], v[42:43], v[62:63]
	v_fma_f64 v[44:45], v[132:133], v[44:45], -v[64:65]
	;; [unrolled: 2-line block ×4, first 2 shown]
	v_mul_f64 v[14:15], v[126:127], v[24:25]
	v_mul_f64 v[16:17], v[126:127], v[22:23]
	;; [unrolled: 1-line block ×8, first 2 shown]
	v_fma_f64 v[74:75], v[124:125], v[22:23], v[14:15]
	v_fma_f64 v[76:77], v[124:125], v[24:25], -v[16:17]
	v_add_f64 v[22:23], v[10:11], v[50:51]
	v_add_f64 v[24:25], v[12:13], v[52:53]
	v_add_f64 v[10:11], v[10:11], -v[50:51]
	v_add_f64 v[12:13], v[12:13], -v[52:53]
	v_add_f64 v[50:51], v[18:19], v[42:43]
	v_add_f64 v[52:53], v[20:21], v[44:45]
	v_add_f64 v[18:19], v[18:19], -v[42:43]
	v_add_f64 v[20:21], v[20:21], -v[44:45]
	;; [unrolled: 4-line block ×3, first 2 shown]
	v_add_f64 v[34:35], v[50:51], v[22:23]
	v_add_f64 v[36:37], v[52:53], v[24:25]
	v_fma_f64 v[30:31], v[120:121], v[30:31], v[62:63]
	v_fma_f64 v[32:33], v[120:121], v[32:33], -v[64:65]
	v_fma_f64 v[38:39], v[116:117], v[38:39], v[66:67]
	v_fma_f64 v[40:41], v[116:117], v[40:41], -v[68:69]
	;; [unrolled: 2-line block ×3, first 2 shown]
	v_add_f64 v[62:63], v[50:51], -v[22:23]
	v_add_f64 v[64:65], v[52:53], -v[24:25]
	;; [unrolled: 1-line block ×6, first 2 shown]
	v_add_f64 v[66:67], v[26:27], v[18:19]
	v_add_f64 v[68:69], v[28:29], v[20:21]
	v_add_f64 v[70:71], v[26:27], -v[18:19]
	v_add_f64 v[72:73], v[28:29], -v[20:21]
	v_add_f64 v[34:35], v[42:43], v[34:35]
	v_add_f64 v[36:37], v[44:45], v[36:37]
	v_add_f64 v[18:19], v[18:19], -v[10:11]
	v_add_f64 v[20:21], v[20:21], -v[12:13]
	s_mov_b32 s12, 0xe976ee23
	s_mov_b32 s4, 0x429ad128
	s_waitcnt vmcnt(1)
	v_mad_u64_u32 v[0:1], s[0:1], s10, v80, 0
	s_mov_b32 s0, 0x36b3c0b5
	s_mov_b32 s3, 0x3fe948f6
	;; [unrolled: 1-line block ×5, first 2 shown]
	v_add_f64 v[26:27], v[10:11], -v[26:27]
	v_add_f64 v[28:29], v[12:13], -v[28:29]
	v_add_f64 v[10:11], v[66:67], v[10:11]
	v_add_f64 v[12:13], v[68:69], v[12:13]
	;; [unrolled: 1-line block ×4, first 2 shown]
	v_mul_f64 v[22:23], v[22:23], s[2:3]
	v_mul_f64 v[24:25], v[24:25], s[2:3]
	;; [unrolled: 1-line block ×8, first 2 shown]
	s_mov_b32 s14, 0xaaaaaaaa
	s_mov_b32 s16, 0x5476071b
	;; [unrolled: 1-line block ×10, first 2 shown]
	s_waitcnt lgkmcnt(0)
	v_mul_f64 v[14:15], v[114:115], v[56:57]
	v_mul_f64 v[16:17], v[114:115], v[54:55]
	v_fma_f64 v[34:35], v[34:35], s[14:15], v[2:3]
	v_fma_f64 v[36:37], v[36:37], s[14:15], v[4:5]
	;; [unrolled: 1-line block ×4, first 2 shown]
	v_fma_f64 v[42:43], v[62:63], s[16:17], -v[42:43]
	v_fma_f64 v[44:45], v[64:65], s[16:17], -v[44:45]
	;; [unrolled: 1-line block ×4, first 2 shown]
	v_fma_f64 v[62:63], v[26:27], s[20:21], v[66:67]
	v_fma_f64 v[64:65], v[28:29], s[20:21], v[68:69]
	v_fma_f64 v[18:19], v[18:19], s[4:5], -v[66:67]
	v_fma_f64 v[20:21], v[20:21], s[4:5], -v[68:69]
	;; [unrolled: 1-line block ×4, first 2 shown]
	s_mov_b32 s22, 0x37c3f68c
	s_mov_b32 s23, 0xbfdc38aa
	v_add_f64 v[50:51], v[50:51], v[34:35]
	v_add_f64 v[52:53], v[52:53], v[36:37]
	;; [unrolled: 1-line block ×6, first 2 shown]
	v_fma_f64 v[28:29], v[12:13], s[22:23], v[28:29]
	v_fma_f64 v[66:67], v[10:11], s[22:23], v[26:27]
	;; [unrolled: 1-line block ×5, first 2 shown]
	v_fma_f64 v[56:57], v[112:113], v[56:57], -v[16:17]
	v_fma_f64 v[64:65], v[12:13], s[22:23], v[64:65]
	v_fma_f64 v[62:63], v[10:11], s[22:23], v[62:63]
	v_add_f64 v[14:15], v[28:29], v[34:35]
	v_add_f64 v[16:17], v[36:37], -v[66:67]
	v_add_f64 v[18:19], v[42:43], -v[22:23]
	v_add_f64 v[20:21], v[24:25], v[44:45]
	v_add_f64 v[22:23], v[22:23], v[42:43]
	v_add_f64 v[24:25], v[44:45], -v[24:25]
	v_add_f64 v[26:27], v[34:35], -v[28:29]
	v_add_f64 v[28:29], v[66:67], v[36:37]
	v_add_f64 v[34:35], v[58:59], v[54:55]
	;; [unrolled: 1-line block ×3, first 2 shown]
	v_add_f64 v[42:43], v[58:59], -v[54:55]
	v_add_f64 v[44:45], v[60:61], -v[56:57]
	v_add_f64 v[54:55], v[74:75], v[46:47]
	v_add_f64 v[56:57], v[76:77], v[48:49]
	v_add_f64 v[46:47], v[74:75], -v[46:47]
	v_add_f64 v[48:49], v[76:77], -v[48:49]
	v_add_f64 v[58:59], v[30:31], v[38:39]
	v_add_f64 v[60:61], v[32:33], v[40:41]
	;; [unrolled: 4-line block ×3, first 2 shown]
	v_add_f64 v[66:67], v[54:55], -v[34:35]
	v_add_f64 v[68:69], v[56:57], -v[36:37]
	;; [unrolled: 1-line block ×6, first 2 shown]
	v_add_f64 v[70:71], v[30:31], v[46:47]
	v_add_f64 v[72:73], v[32:33], v[48:49]
	v_add_f64 v[74:75], v[30:31], -v[46:47]
	v_add_f64 v[76:77], v[32:33], -v[48:49]
	v_add_f64 v[38:39], v[58:59], v[38:39]
	v_add_f64 v[40:41], v[60:61], v[40:41]
	v_add_f64 v[46:47], v[46:47], -v[42:43]
	v_add_f64 v[48:49], v[48:49], -v[44:45]
	v_add_f64 v[30:31], v[42:43], -v[30:31]
	v_add_f64 v[32:33], v[44:45], -v[32:33]
	v_add_f64 v[42:43], v[70:71], v[42:43]
	v_add_f64 v[44:45], v[72:73], v[44:45]
	;; [unrolled: 1-line block ×4, first 2 shown]
	v_mul_f64 v[34:35], v[34:35], s[2:3]
	v_mul_f64 v[36:37], v[36:37], s[2:3]
	;; [unrolled: 1-line block ×8, first 2 shown]
	v_fma_f64 v[38:39], v[38:39], s[14:15], v[6:7]
	v_fma_f64 v[40:41], v[40:41], s[14:15], v[8:9]
	;; [unrolled: 1-line block ×4, first 2 shown]
	v_fma_f64 v[58:59], v[66:67], s[16:17], -v[58:59]
	v_fma_f64 v[60:61], v[68:69], s[16:17], -v[60:61]
	;; [unrolled: 1-line block ×4, first 2 shown]
	v_fma_f64 v[66:67], v[30:31], s[20:21], v[70:71]
	v_fma_f64 v[68:69], v[32:33], s[20:21], v[72:73]
	v_fma_f64 v[30:31], v[30:31], s[24:25], -v[74:75]
	v_fma_f64 v[32:33], v[32:33], s[24:25], -v[76:77]
	;; [unrolled: 1-line block ×4, first 2 shown]
	v_add_f64 v[54:55], v[54:55], v[38:39]
	v_add_f64 v[56:57], v[56:57], v[40:41]
	;; [unrolled: 1-line block ×4, first 2 shown]
	v_fma_f64 v[68:69], v[44:45], s[22:23], v[68:69]
	v_fma_f64 v[66:67], v[42:43], s[22:23], v[66:67]
	;; [unrolled: 1-line block ×4, first 2 shown]
	v_add_f64 v[58:59], v[58:59], v[38:39]
	v_add_f64 v[60:61], v[60:61], v[40:41]
	v_fma_f64 v[48:49], v[44:45], s[22:23], v[48:49]
	v_fma_f64 v[78:79], v[42:43], s[22:23], v[46:47]
	v_add_f64 v[10:11], v[64:65], v[50:51]
	v_add_f64 v[12:13], v[52:53], -v[62:63]
	v_add_f64 v[30:31], v[50:51], -v[64:65]
	v_add_f64 v[32:33], v[62:63], v[52:53]
	v_add_f64 v[34:35], v[68:69], v[54:55]
	v_add_f64 v[36:37], v[56:57], -v[66:67]
	v_add_f64 v[38:39], v[74:75], v[70:71]
	v_add_f64 v[40:41], v[72:73], -v[76:77]
	v_add_f64 v[42:43], v[58:59], -v[48:49]
	v_add_f64 v[44:45], v[78:79], v[60:61]
	v_add_f64 v[46:47], v[48:49], v[58:59]
	v_add_f64 v[48:49], v[60:61], -v[78:79]
	v_add_f64 v[50:51], v[70:71], -v[74:75]
	v_add_f64 v[52:53], v[76:77], v[72:73]
	v_add_f64 v[54:55], v[54:55], -v[68:69]
	v_add_f64 v[56:57], v[66:67], v[56:57]
	s_waitcnt lgkmcnt(0)
	; wave barrier
	ds_write_b128 v255, v[2:5]
	ds_write_b128 v255, v[10:13] offset:816
	ds_write_b128 v255, v[14:17] offset:1632
	;; [unrolled: 1-line block ×13, first 2 shown]
	s_waitcnt lgkmcnt(0)
	; wave barrier
	s_waitcnt lgkmcnt(0)
	ds_read_b128 v[2:5], v255 offset:5712
	ds_read_b128 v[6:9], v255
	ds_read_b128 v[10:13], v255 offset:816
	ds_read_b128 v[14:17], v255 offset:6528
	;; [unrolled: 1-line block ×8, first 2 shown]
	s_waitcnt lgkmcnt(9)
	v_mul_f64 v[58:59], v[138:139], v[4:5]
	v_mul_f64 v[60:61], v[138:139], v[2:3]
	s_waitcnt lgkmcnt(6)
	v_mul_f64 v[62:63], v[142:143], v[16:17]
	v_mul_f64 v[64:65], v[142:143], v[14:15]
	ds_read_b128 v[42:45], v255 offset:3264
	ds_read_b128 v[46:49], v255 offset:4080
	;; [unrolled: 1-line block ×4, first 2 shown]
	s_waitcnt lgkmcnt(5)
	v_mul_f64 v[66:67], v[166:167], v[36:37]
	v_mul_f64 v[68:69], v[166:167], v[34:35]
	s_mov_b32 s2, 0x16f26017
	v_fma_f64 v[2:3], v[136:137], v[2:3], v[58:59]
	v_fma_f64 v[4:5], v[136:137], v[4:5], -v[60:61]
	v_mul_f64 v[58:59], v[154:155], v[20:21]
	v_mul_f64 v[60:61], v[154:155], v[18:19]
	v_fma_f64 v[14:15], v[140:141], v[14:15], v[62:63]
	v_fma_f64 v[16:17], v[140:141], v[16:17], -v[64:65]
	v_mul_f64 v[62:63], v[158:159], v[32:33]
	v_mul_f64 v[64:65], v[158:159], v[30:31]
	s_waitcnt lgkmcnt(1)
	v_mul_f64 v[70:71], v[174:175], v[52:53]
	v_mul_f64 v[72:73], v[174:175], v[50:51]
	v_fma_f64 v[18:19], v[152:153], v[18:19], v[58:59]
	v_fma_f64 v[20:21], v[152:153], v[20:21], -v[60:61]
	s_waitcnt lgkmcnt(0)
	v_mul_f64 v[58:59], v[170:171], v[56:57]
	v_mul_f64 v[60:61], v[170:171], v[54:55]
	v_fma_f64 v[30:31], v[156:157], v[30:31], v[62:63]
	v_fma_f64 v[32:33], v[156:157], v[32:33], -v[64:65]
	v_fma_f64 v[34:35], v[164:165], v[34:35], v[66:67]
	v_fma_f64 v[36:37], v[164:165], v[36:37], -v[68:69]
	;; [unrolled: 2-line block ×3, first 2 shown]
	v_add_f64 v[2:3], v[6:7], -v[2:3]
	v_add_f64 v[4:5], v[8:9], -v[4:5]
	v_fma_f64 v[54:55], v[168:169], v[54:55], v[58:59]
	v_fma_f64 v[56:57], v[168:169], v[56:57], -v[60:61]
	v_add_f64 v[14:15], v[10:11], -v[14:15]
	v_add_f64 v[16:17], v[12:13], -v[16:17]
	;; [unrolled: 1-line block ×6, first 2 shown]
	v_fma_f64 v[6:7], v[6:7], 2.0, -v[2:3]
	v_fma_f64 v[8:9], v[8:9], 2.0, -v[4:5]
	v_add_f64 v[34:35], v[42:43], -v[34:35]
	v_add_f64 v[36:37], v[44:45], -v[36:37]
	;; [unrolled: 1-line block ×6, first 2 shown]
	v_fma_f64 v[10:11], v[10:11], 2.0, -v[14:15]
	v_fma_f64 v[12:13], v[12:13], 2.0, -v[16:17]
	;; [unrolled: 1-line block ×12, first 2 shown]
	ds_write_b128 v255, v[6:9]
	ds_write_b128 v255, v[2:5] offset:5712
	ds_write_b128 v255, v[10:13] offset:816
	;; [unrolled: 1-line block ×13, first 2 shown]
	s_waitcnt lgkmcnt(0)
	; wave barrier
	s_waitcnt lgkmcnt(0)
	ds_read_b128 v[2:5], v255
	ds_read_b128 v[6:9], v255 offset:816
	buffer_load_dword v15, off, s[68:71], 0 offset:184 ; 4-byte Folded Reload
	buffer_load_dword v16, off, s[68:71], 0 offset:188 ; 4-byte Folded Reload
	;; [unrolled: 1-line block ×4, first 2 shown]
	s_mov_b32 s3, 0x3f56f260
	v_mov_b32_e32 v24, s7
	s_waitcnt lgkmcnt(1)
	v_mad_u64_u32 v[12:13], s[0:1], s11, v80, v[1:2]
	v_mov_b32_e32 v1, v12
	v_lshlrev_b64 v[0:1], 4, v[0:1]
	s_waitcnt vmcnt(0)
	v_mul_f64 v[10:11], v[17:18], v[4:5]
	v_mul_f64 v[13:14], v[17:18], v[2:3]
	v_mad_u64_u32 v[18:19], s[0:1], s8, v240, 0
	v_fma_f64 v[2:3], v[15:16], v[2:3], v[10:11]
	v_mov_b32_e32 v10, v19
	v_fma_f64 v[4:5], v[15:16], v[4:5], -v[13:14]
	v_mad_u64_u32 v[14:15], s[0:1], s9, v240, v[10:11]
	ds_read_b128 v[10:13], v255 offset:3808
	v_add_co_u32_e64 v25, s[0:1], s6, v0
	v_mov_b32_e32 v19, v14
	ds_read_b128 v[14:17], v255 offset:4624
	buffer_load_dword v26, off, s[68:71], 0 offset:40 ; 4-byte Folded Reload
	buffer_load_dword v27, off, s[68:71], 0 offset:44 ; 4-byte Folded Reload
	;; [unrolled: 1-line block ×4, first 2 shown]
	v_mul_f64 v[2:3], v[2:3], s[2:3]
	v_mul_f64 v[4:5], v[4:5], s[2:3]
	v_addc_co_u32_e64 v24, s[0:1], v24, v1, s[0:1]
	v_lshlrev_b64 v[0:1], 4, v[18:19]
	s_waitcnt vmcnt(0) lgkmcnt(1)
	v_mul_f64 v[20:21], v[28:29], v[12:13]
	v_mul_f64 v[22:23], v[28:29], v[10:11]
	v_fma_f64 v[18:19], v[26:27], v[10:11], v[20:21]
	v_fma_f64 v[20:21], v[26:27], v[12:13], -v[22:23]
	v_add_co_u32_e64 v22, s[0:1], v25, v0
	v_addc_co_u32_e64 v23, s[0:1], v24, v1, s[0:1]
	global_store_dwordx4 v[22:23], v[2:5], off
	ds_read_b128 v[10:13], v255 offset:7616
	v_mul_f64 v[0:1], v[18:19], s[2:3]
	v_mul_f64 v[2:3], v[20:21], s[2:3]
	ds_read_b128 v[18:21], v255 offset:8432
	buffer_load_dword v26, off, s[68:71], 0 offset:72 ; 4-byte Folded Reload
	buffer_load_dword v27, off, s[68:71], 0 offset:76 ; 4-byte Folded Reload
	;; [unrolled: 1-line block ×8, first 2 shown]
	s_mul_i32 s0, s9, 0xee
	s_mul_hi_u32 s1, s8, 0xee
	s_add_i32 s1, s1, s0
	s_mul_i32 s0, s8, 0xee
	s_lshl_b64 s[4:5], s[0:1], 4
	v_mov_b32_e32 v30, s5
	v_add_co_u32_e64 v22, s[0:1], s4, v22
	v_addc_co_u32_e64 v23, s[0:1], v23, v30, s[0:1]
	global_store_dwordx4 v[22:23], v[0:3], off
	s_waitcnt vmcnt(5) lgkmcnt(1)
	v_mul_f64 v[4:5], v[28:29], v[12:13]
	v_mul_f64 v[24:25], v[28:29], v[10:11]
	v_fma_f64 v[4:5], v[26:27], v[10:11], v[4:5]
	v_fma_f64 v[12:13], v[26:27], v[12:13], -v[24:25]
	s_waitcnt vmcnt(1)
	v_mul_f64 v[24:25], v[33:34], v[8:9]
	v_mul_f64 v[26:27], v[33:34], v[6:7]
	;; [unrolled: 1-line block ×4, first 2 shown]
	v_fma_f64 v[4:5], v[31:32], v[6:7], v[24:25]
	v_fma_f64 v[6:7], v[31:32], v[8:9], -v[26:27]
	v_add_co_u32_e64 v8, s[0:1], s4, v22
	v_addc_co_u32_e64 v9, s[0:1], v23, v30, s[0:1]
	s_mul_hi_u32 s1, s8, 0xfffffe57
	global_store_dwordx4 v[8:9], v[10:13], off
	buffer_load_dword v10, off, s[68:71], 0 offset:216 ; 4-byte Folded Reload
	s_nop 0
	buffer_load_dword v11, off, s[68:71], 0 offset:220 ; 4-byte Folded Reload
	buffer_load_dword v12, off, s[68:71], 0 offset:224 ; 4-byte Folded Reload
	;; [unrolled: 1-line block ×7, first 2 shown]
	v_mul_f64 v[0:1], v[4:5], s[2:3]
	v_mul_f64 v[2:3], v[6:7], s[2:3]
	s_mul_i32 s0, s9, 0xfffffe57
	s_sub_i32 s1, s1, s8
	s_add_i32 s1, s1, s0
	s_mul_i32 s0, s8, 0xfffffe57
	s_lshl_b64 s[6:7], s[0:1], 4
	v_mov_b32_e32 v31, s7
	s_waitcnt vmcnt(4)
	v_mul_f64 v[4:5], v[12:13], v[16:17]
	v_mul_f64 v[6:7], v[12:13], v[14:15]
	s_waitcnt vmcnt(0) lgkmcnt(0)
	v_mul_f64 v[12:13], v[24:25], v[20:21]
	v_fma_f64 v[4:5], v[10:11], v[14:15], v[4:5]
	v_fma_f64 v[10:11], v[10:11], v[16:17], -v[6:7]
	v_add_co_u32_e64 v16, s[0:1], s6, v8
	v_addc_co_u32_e64 v17, s[0:1], v9, v31, s[0:1]
	global_store_dwordx4 v[16:17], v[0:3], off
	v_mul_f64 v[14:15], v[24:25], v[18:19]
	v_mul_f64 v[0:1], v[4:5], s[2:3]
	ds_read_b128 v[4:7], v255 offset:1632
	v_mul_f64 v[2:3], v[10:11], s[2:3]
	ds_read_b128 v[8:11], v255 offset:2448
	buffer_load_dword v24, off, s[68:71], 0 offset:104 ; 4-byte Folded Reload
	buffer_load_dword v25, off, s[68:71], 0 offset:108 ; 4-byte Folded Reload
	;; [unrolled: 1-line block ×4, first 2 shown]
	v_fma_f64 v[12:13], v[22:23], v[18:19], v[12:13]
	v_add_co_u32_e64 v16, s[0:1], s4, v16
	v_fma_f64 v[18:19], v[22:23], v[20:21], -v[14:15]
	v_addc_co_u32_e64 v17, s[0:1], v17, v30, s[0:1]
	global_store_dwordx4 v[16:17], v[0:3], off
	s_waitcnt vmcnt(1) lgkmcnt(1)
	v_mul_f64 v[20:21], v[26:27], v[6:7]
	v_mul_f64 v[22:23], v[26:27], v[4:5]
	;; [unrolled: 1-line block ×3, first 2 shown]
	ds_read_b128 v[12:15], v255 offset:5440
	v_mul_f64 v[2:3], v[18:19], s[2:3]
	v_add_co_u32_e64 v26, s[0:1], s4, v16
	v_addc_co_u32_e64 v27, s[0:1], v17, v30, s[0:1]
	v_fma_f64 v[18:19], v[24:25], v[4:5], v[20:21]
	v_fma_f64 v[20:21], v[24:25], v[6:7], -v[22:23]
	ds_read_b128 v[4:7], v255 offset:6256
	buffer_load_dword v32, off, s[68:71], 0 offset:88 ; 4-byte Folded Reload
	buffer_load_dword v33, off, s[68:71], 0 offset:92 ; 4-byte Folded Reload
	;; [unrolled: 1-line block ×4, first 2 shown]
	s_waitcnt vmcnt(0) lgkmcnt(1)
	v_mul_f64 v[22:23], v[34:35], v[14:15]
	v_mul_f64 v[24:25], v[34:35], v[12:13]
	global_store_dwordx4 v[26:27], v[0:3], off
	v_add_co_u32_e64 v26, s[0:1], s6, v26
	v_mul_f64 v[0:1], v[18:19], s[2:3]
	ds_read_b128 v[16:19], v255 offset:9248
	v_mul_f64 v[2:3], v[20:21], s[2:3]
	v_fma_f64 v[20:21], v[32:33], v[12:13], v[22:23]
	v_fma_f64 v[22:23], v[32:33], v[14:15], -v[24:25]
	ds_read_b128 v[12:15], v255 offset:10064
	buffer_load_dword v32, off, s[68:71], 0 offset:56 ; 4-byte Folded Reload
	buffer_load_dword v33, off, s[68:71], 0 offset:60 ; 4-byte Folded Reload
	;; [unrolled: 1-line block ×4, first 2 shown]
	v_addc_co_u32_e64 v27, s[0:1], v27, v31, s[0:1]
	global_store_dwordx4 v[26:27], v[0:3], off
	s_nop 0
	v_mul_f64 v[0:1], v[20:21], s[2:3]
	v_mul_f64 v[2:3], v[22:23], s[2:3]
	s_waitcnt vmcnt(1) lgkmcnt(1)
	v_mul_f64 v[24:25], v[34:35], v[18:19]
	v_mul_f64 v[28:29], v[34:35], v[16:17]
	v_fma_f64 v[16:17], v[32:33], v[16:17], v[24:25]
	v_fma_f64 v[18:19], v[32:33], v[18:19], -v[28:29]
	buffer_load_dword v32, off, s[68:71], 0 offset:120 ; 4-byte Folded Reload
	buffer_load_dword v33, off, s[68:71], 0 offset:124 ; 4-byte Folded Reload
	;; [unrolled: 1-line block ×4, first 2 shown]
	v_add_co_u32_e64 v24, s[0:1], s4, v26
	v_addc_co_u32_e64 v25, s[0:1], v27, v30, s[0:1]
	global_store_dwordx4 v[24:25], v[0:3], off
	buffer_load_dword v26, off, s[68:71], 0 offset:136 ; 4-byte Folded Reload
	buffer_load_dword v27, off, s[68:71], 0 offset:140 ; 4-byte Folded Reload
	buffer_load_dword v28, off, s[68:71], 0 offset:144 ; 4-byte Folded Reload
	buffer_load_dword v29, off, s[68:71], 0 offset:148 ; 4-byte Folded Reload
	v_mul_f64 v[0:1], v[16:17], s[2:3]
	v_mul_f64 v[2:3], v[18:19], s[2:3]
	v_add_co_u32_e64 v24, s[0:1], s4, v24
	v_addc_co_u32_e64 v25, s[0:1], v25, v30, s[0:1]
	s_waitcnt vmcnt(5)
	v_mul_f64 v[20:21], v[34:35], v[10:11]
	v_mul_f64 v[22:23], v[34:35], v[8:9]
	s_waitcnt vmcnt(0)
	v_mul_f64 v[16:17], v[28:29], v[6:7]
	v_mul_f64 v[18:19], v[28:29], v[4:5]
	v_fma_f64 v[8:9], v[32:33], v[8:9], v[20:21]
	v_fma_f64 v[10:11], v[32:33], v[10:11], -v[22:23]
	buffer_load_dword v32, off, s[68:71], 0 offset:168 ; 4-byte Folded Reload
	buffer_load_dword v33, off, s[68:71], 0 offset:172 ; 4-byte Folded Reload
	;; [unrolled: 1-line block ×4, first 2 shown]
	v_fma_f64 v[4:5], v[26:27], v[4:5], v[16:17]
	v_fma_f64 v[6:7], v[26:27], v[6:7], -v[18:19]
	global_store_dwordx4 v[24:25], v[0:3], off
	v_mul_f64 v[4:5], v[4:5], s[2:3]
	v_mul_f64 v[0:1], v[8:9], s[2:3]
	;; [unrolled: 1-line block ×4, first 2 shown]
	s_waitcnt vmcnt(1) lgkmcnt(0)
	v_mul_f64 v[20:21], v[34:35], v[14:15]
	v_mul_f64 v[22:23], v[34:35], v[12:13]
	v_fma_f64 v[8:9], v[32:33], v[12:13], v[20:21]
	v_fma_f64 v[10:11], v[32:33], v[14:15], -v[22:23]
	v_add_co_u32_e64 v12, s[0:1], s6, v24
	v_addc_co_u32_e64 v13, s[0:1], v25, v31, s[0:1]
	global_store_dwordx4 v[12:13], v[0:3], off
	v_mul_f64 v[8:9], v[8:9], s[2:3]
	v_mul_f64 v[10:11], v[10:11], s[2:3]
	v_add_co_u32_e64 v0, s[0:1], s4, v12
	v_addc_co_u32_e64 v1, s[0:1], v13, v30, s[0:1]
	global_store_dwordx4 v[0:1], v[4:7], off
	v_add_co_u32_e64 v0, s[0:1], s4, v0
	v_addc_co_u32_e64 v1, s[0:1], v1, v30, s[0:1]
	global_store_dwordx4 v[0:1], v[8:11], off
	s_and_b64 exec, exec, vcc
	s_cbranch_execz .LBB0_23
; %bb.22:
	global_load_dwordx4 v[2:5], v[238:239], off offset:3264
	ds_read_b128 v[6:9], v255 offset:3264
	ds_read_b128 v[10:13], v255 offset:7072
	s_movk_i32 s0, 0x1000
	s_waitcnt vmcnt(0) lgkmcnt(1)
	v_mul_f64 v[14:15], v[8:9], v[4:5]
	v_mul_f64 v[4:5], v[6:7], v[4:5]
	v_fma_f64 v[6:7], v[6:7], v[2:3], v[14:15]
	v_fma_f64 v[4:5], v[2:3], v[8:9], -v[4:5]
	v_mov_b32_e32 v8, s7
	v_mul_f64 v[2:3], v[6:7], s[2:3]
	v_mul_f64 v[4:5], v[4:5], s[2:3]
	v_add_co_u32_e32 v6, vcc, s6, v0
	v_addc_co_u32_e32 v7, vcc, v1, v8, vcc
	v_add_co_u32_e32 v0, vcc, s0, v238
	v_addc_co_u32_e32 v1, vcc, 0, v239, vcc
	global_store_dwordx4 v[6:7], v[2:5], off
	global_load_dwordx4 v[0:3], v[0:1], off offset:2976
	s_movk_i32 s0, 0x2000
	s_waitcnt vmcnt(0) lgkmcnt(0)
	v_mul_f64 v[4:5], v[12:13], v[2:3]
	v_mul_f64 v[2:3], v[10:11], v[2:3]
	v_fma_f64 v[4:5], v[10:11], v[0:1], v[4:5]
	v_fma_f64 v[2:3], v[0:1], v[12:13], -v[2:3]
	v_mov_b32_e32 v12, s5
	v_mul_f64 v[0:1], v[4:5], s[2:3]
	v_mul_f64 v[2:3], v[2:3], s[2:3]
	v_add_co_u32_e32 v4, vcc, s0, v238
	v_addc_co_u32_e32 v5, vcc, 0, v239, vcc
	v_add_co_u32_e32 v8, vcc, s4, v6
	v_addc_co_u32_e32 v9, vcc, v7, v12, vcc
	global_store_dwordx4 v[8:9], v[0:3], off
	global_load_dwordx4 v[0:3], v[4:5], off offset:2688
	ds_read_b128 v[4:7], v255 offset:10880
	s_waitcnt vmcnt(0) lgkmcnt(0)
	v_mul_f64 v[10:11], v[6:7], v[2:3]
	v_mul_f64 v[2:3], v[4:5], v[2:3]
	v_fma_f64 v[4:5], v[4:5], v[0:1], v[10:11]
	v_fma_f64 v[2:3], v[0:1], v[6:7], -v[2:3]
	v_mul_f64 v[0:1], v[4:5], s[2:3]
	v_mul_f64 v[2:3], v[2:3], s[2:3]
	v_add_co_u32_e32 v4, vcc, s4, v8
	v_addc_co_u32_e32 v5, vcc, v9, v12, vcc
	global_store_dwordx4 v[4:5], v[0:3], off
.LBB0_23:
	s_endpgm
	.section	.rodata,"a",@progbits
	.p2align	6, 0x0
	.amdhsa_kernel bluestein_single_fwd_len714_dim1_dp_op_CI_CI
		.amdhsa_group_segment_fixed_size 11424
		.amdhsa_private_segment_fixed_size 696
		.amdhsa_kernarg_size 104
		.amdhsa_user_sgpr_count 6
		.amdhsa_user_sgpr_private_segment_buffer 1
		.amdhsa_user_sgpr_dispatch_ptr 0
		.amdhsa_user_sgpr_queue_ptr 0
		.amdhsa_user_sgpr_kernarg_segment_ptr 1
		.amdhsa_user_sgpr_dispatch_id 0
		.amdhsa_user_sgpr_flat_scratch_init 0
		.amdhsa_user_sgpr_private_segment_size 0
		.amdhsa_uses_dynamic_stack 0
		.amdhsa_system_sgpr_private_segment_wavefront_offset 1
		.amdhsa_system_sgpr_workgroup_id_x 1
		.amdhsa_system_sgpr_workgroup_id_y 0
		.amdhsa_system_sgpr_workgroup_id_z 0
		.amdhsa_system_sgpr_workgroup_info 0
		.amdhsa_system_vgpr_workitem_id 0
		.amdhsa_next_free_vgpr 256
		.amdhsa_next_free_sgpr 72
		.amdhsa_reserve_vcc 1
		.amdhsa_reserve_flat_scratch 0
		.amdhsa_float_round_mode_32 0
		.amdhsa_float_round_mode_16_64 0
		.amdhsa_float_denorm_mode_32 3
		.amdhsa_float_denorm_mode_16_64 3
		.amdhsa_dx10_clamp 1
		.amdhsa_ieee_mode 1
		.amdhsa_fp16_overflow 0
		.amdhsa_exception_fp_ieee_invalid_op 0
		.amdhsa_exception_fp_denorm_src 0
		.amdhsa_exception_fp_ieee_div_zero 0
		.amdhsa_exception_fp_ieee_overflow 0
		.amdhsa_exception_fp_ieee_underflow 0
		.amdhsa_exception_fp_ieee_inexact 0
		.amdhsa_exception_int_div_zero 0
	.end_amdhsa_kernel
	.text
.Lfunc_end0:
	.size	bluestein_single_fwd_len714_dim1_dp_op_CI_CI, .Lfunc_end0-bluestein_single_fwd_len714_dim1_dp_op_CI_CI
                                        ; -- End function
	.section	.AMDGPU.csdata,"",@progbits
; Kernel info:
; codeLenInByte = 30084
; NumSgprs: 76
; NumVgprs: 256
; ScratchSize: 696
; MemoryBound: 0
; FloatMode: 240
; IeeeMode: 1
; LDSByteSize: 11424 bytes/workgroup (compile time only)
; SGPRBlocks: 9
; VGPRBlocks: 63
; NumSGPRsForWavesPerEU: 76
; NumVGPRsForWavesPerEU: 256
; Occupancy: 1
; WaveLimiterHint : 1
; COMPUTE_PGM_RSRC2:SCRATCH_EN: 1
; COMPUTE_PGM_RSRC2:USER_SGPR: 6
; COMPUTE_PGM_RSRC2:TRAP_HANDLER: 0
; COMPUTE_PGM_RSRC2:TGID_X_EN: 1
; COMPUTE_PGM_RSRC2:TGID_Y_EN: 0
; COMPUTE_PGM_RSRC2:TGID_Z_EN: 0
; COMPUTE_PGM_RSRC2:TIDIG_COMP_CNT: 0
	.type	__hip_cuid_40cd641aa6ed672d,@object ; @__hip_cuid_40cd641aa6ed672d
	.section	.bss,"aw",@nobits
	.globl	__hip_cuid_40cd641aa6ed672d
__hip_cuid_40cd641aa6ed672d:
	.byte	0                               ; 0x0
	.size	__hip_cuid_40cd641aa6ed672d, 1

	.ident	"AMD clang version 19.0.0git (https://github.com/RadeonOpenCompute/llvm-project roc-6.4.0 25133 c7fe45cf4b819c5991fe208aaa96edf142730f1d)"
	.section	".note.GNU-stack","",@progbits
	.addrsig
	.addrsig_sym __hip_cuid_40cd641aa6ed672d
	.amdgpu_metadata
---
amdhsa.kernels:
  - .args:
      - .actual_access:  read_only
        .address_space:  global
        .offset:         0
        .size:           8
        .value_kind:     global_buffer
      - .actual_access:  read_only
        .address_space:  global
        .offset:         8
        .size:           8
        .value_kind:     global_buffer
      - .actual_access:  read_only
        .address_space:  global
        .offset:         16
        .size:           8
        .value_kind:     global_buffer
      - .actual_access:  read_only
        .address_space:  global
        .offset:         24
        .size:           8
        .value_kind:     global_buffer
      - .actual_access:  read_only
        .address_space:  global
        .offset:         32
        .size:           8
        .value_kind:     global_buffer
      - .offset:         40
        .size:           8
        .value_kind:     by_value
      - .address_space:  global
        .offset:         48
        .size:           8
        .value_kind:     global_buffer
      - .address_space:  global
        .offset:         56
        .size:           8
        .value_kind:     global_buffer
      - .address_space:  global
        .offset:         64
        .size:           8
        .value_kind:     global_buffer
      - .address_space:  global
        .offset:         72
        .size:           8
        .value_kind:     global_buffer
      - .offset:         80
        .size:           4
        .value_kind:     by_value
      - .address_space:  global
        .offset:         88
        .size:           8
        .value_kind:     global_buffer
      - .address_space:  global
        .offset:         96
        .size:           8
        .value_kind:     global_buffer
    .group_segment_fixed_size: 11424
    .kernarg_segment_align: 8
    .kernarg_segment_size: 104
    .language:       OpenCL C
    .language_version:
      - 2
      - 0
    .max_flat_workgroup_size: 51
    .name:           bluestein_single_fwd_len714_dim1_dp_op_CI_CI
    .private_segment_fixed_size: 696
    .sgpr_count:     76
    .sgpr_spill_count: 0
    .symbol:         bluestein_single_fwd_len714_dim1_dp_op_CI_CI.kd
    .uniform_work_group_size: 1
    .uses_dynamic_stack: false
    .vgpr_count:     256
    .vgpr_spill_count: 213
    .wavefront_size: 64
amdhsa.target:   amdgcn-amd-amdhsa--gfx906
amdhsa.version:
  - 1
  - 2
...

	.end_amdgpu_metadata
